;; amdgpu-corpus repo=ROCm/rocFFT kind=compiled arch=gfx1030 opt=O3
	.text
	.amdgcn_target "amdgcn-amd-amdhsa--gfx1030"
	.amdhsa_code_object_version 6
	.protected	fft_rtc_fwd_len2040_factors_17_4_3_10_wgs_170_tpt_170_halfLds_dp_ip_CI_unitstride_sbrr_R2C_dirReg ; -- Begin function fft_rtc_fwd_len2040_factors_17_4_3_10_wgs_170_tpt_170_halfLds_dp_ip_CI_unitstride_sbrr_R2C_dirReg
	.globl	fft_rtc_fwd_len2040_factors_17_4_3_10_wgs_170_tpt_170_halfLds_dp_ip_CI_unitstride_sbrr_R2C_dirReg
	.p2align	8
	.type	fft_rtc_fwd_len2040_factors_17_4_3_10_wgs_170_tpt_170_halfLds_dp_ip_CI_unitstride_sbrr_R2C_dirReg,@function
fft_rtc_fwd_len2040_factors_17_4_3_10_wgs_170_tpt_170_halfLds_dp_ip_CI_unitstride_sbrr_R2C_dirReg: ; @fft_rtc_fwd_len2040_factors_17_4_3_10_wgs_170_tpt_170_halfLds_dp_ip_CI_unitstride_sbrr_R2C_dirReg
; %bb.0:
	s_mov_b64 s[58:59], s[2:3]
	s_mov_b64 s[56:57], s[0:1]
	s_clause 0x2
	s_load_dwordx4 s[8:11], s[4:5], 0x0
	s_load_dwordx2 s[2:3], s[4:5], 0x50
	s_load_dwordx2 s[12:13], s[4:5], 0x18
	v_mul_u32_u24_e32 v1, 0x182, v0
	v_mov_b32_e32 v3, 0
	s_add_u32 s56, s56, s7
	s_addc_u32 s57, s57, 0
	v_add_nc_u32_sdwa v5, s6, v1 dst_sel:DWORD dst_unused:UNUSED_PAD src0_sel:DWORD src1_sel:WORD_1
	v_mov_b32_e32 v1, 0
	v_mov_b32_e32 v6, v3
	;; [unrolled: 1-line block ×3, first 2 shown]
	s_waitcnt lgkmcnt(0)
	v_cmp_lt_u64_e64 s0, s[10:11], 2
	s_and_b32 vcc_lo, exec_lo, s0
	s_cbranch_vccnz .LBB0_8
; %bb.1:
	s_load_dwordx2 s[0:1], s[4:5], 0x10
	v_mov_b32_e32 v1, 0
	s_add_u32 s6, s12, 8
	v_mov_b32_e32 v2, 0
	s_addc_u32 s7, s13, 0
	s_mov_b64 s[16:17], 1
	s_waitcnt lgkmcnt(0)
	s_add_u32 s14, s0, 8
	s_addc_u32 s15, s1, 0
.LBB0_2:                                ; =>This Inner Loop Header: Depth=1
	s_load_dwordx2 s[18:19], s[14:15], 0x0
                                        ; implicit-def: $vgpr7_vgpr8
	s_mov_b32 s0, exec_lo
	s_waitcnt lgkmcnt(0)
	v_or_b32_e32 v4, s19, v6
	v_cmpx_ne_u64_e32 0, v[3:4]
	s_xor_b32 s1, exec_lo, s0
	s_cbranch_execz .LBB0_4
; %bb.3:                                ;   in Loop: Header=BB0_2 Depth=1
	v_cvt_f32_u32_e32 v4, s18
	v_cvt_f32_u32_e32 v7, s19
	s_sub_u32 s0, 0, s18
	s_subb_u32 s20, 0, s19
	v_fmac_f32_e32 v4, 0x4f800000, v7
	v_rcp_f32_e32 v4, v4
	v_mul_f32_e32 v4, 0x5f7ffffc, v4
	v_mul_f32_e32 v7, 0x2f800000, v4
	v_trunc_f32_e32 v7, v7
	v_fmac_f32_e32 v4, 0xcf800000, v7
	v_cvt_u32_f32_e32 v7, v7
	v_cvt_u32_f32_e32 v4, v4
	v_mul_lo_u32 v8, s0, v7
	v_mul_hi_u32 v9, s0, v4
	v_mul_lo_u32 v10, s20, v4
	v_add_nc_u32_e32 v8, v9, v8
	v_mul_lo_u32 v9, s0, v4
	v_add_nc_u32_e32 v8, v8, v10
	v_mul_hi_u32 v10, v4, v9
	v_mul_lo_u32 v11, v4, v8
	v_mul_hi_u32 v12, v4, v8
	v_mul_hi_u32 v13, v7, v9
	v_mul_lo_u32 v9, v7, v9
	v_mul_hi_u32 v14, v7, v8
	v_mul_lo_u32 v8, v7, v8
	v_add_co_u32 v10, vcc_lo, v10, v11
	v_add_co_ci_u32_e32 v11, vcc_lo, 0, v12, vcc_lo
	v_add_co_u32 v9, vcc_lo, v10, v9
	v_add_co_ci_u32_e32 v9, vcc_lo, v11, v13, vcc_lo
	v_add_co_ci_u32_e32 v10, vcc_lo, 0, v14, vcc_lo
	v_add_co_u32 v8, vcc_lo, v9, v8
	v_add_co_ci_u32_e32 v9, vcc_lo, 0, v10, vcc_lo
	v_add_co_u32 v4, vcc_lo, v4, v8
	v_add_co_ci_u32_e32 v7, vcc_lo, v7, v9, vcc_lo
	v_mul_hi_u32 v8, s0, v4
	v_mul_lo_u32 v10, s20, v4
	v_mul_lo_u32 v9, s0, v7
	v_add_nc_u32_e32 v8, v8, v9
	v_mul_lo_u32 v9, s0, v4
	v_add_nc_u32_e32 v8, v8, v10
	v_mul_hi_u32 v10, v4, v9
	v_mul_lo_u32 v11, v4, v8
	v_mul_hi_u32 v12, v4, v8
	v_mul_hi_u32 v13, v7, v9
	v_mul_lo_u32 v9, v7, v9
	v_mul_hi_u32 v14, v7, v8
	v_mul_lo_u32 v8, v7, v8
	v_add_co_u32 v10, vcc_lo, v10, v11
	v_add_co_ci_u32_e32 v11, vcc_lo, 0, v12, vcc_lo
	v_add_co_u32 v9, vcc_lo, v10, v9
	v_add_co_ci_u32_e32 v9, vcc_lo, v11, v13, vcc_lo
	v_add_co_ci_u32_e32 v10, vcc_lo, 0, v14, vcc_lo
	v_add_co_u32 v8, vcc_lo, v9, v8
	v_add_co_ci_u32_e32 v9, vcc_lo, 0, v10, vcc_lo
	v_add_co_u32 v4, vcc_lo, v4, v8
	v_add_co_ci_u32_e32 v11, vcc_lo, v7, v9, vcc_lo
	v_mul_hi_u32 v13, v5, v4
	v_mad_u64_u32 v[9:10], null, v6, v4, 0
	v_mad_u64_u32 v[7:8], null, v5, v11, 0
	;; [unrolled: 1-line block ×3, first 2 shown]
	v_add_co_u32 v4, vcc_lo, v13, v7
	v_add_co_ci_u32_e32 v7, vcc_lo, 0, v8, vcc_lo
	v_add_co_u32 v4, vcc_lo, v4, v9
	v_add_co_ci_u32_e32 v4, vcc_lo, v7, v10, vcc_lo
	v_add_co_ci_u32_e32 v7, vcc_lo, 0, v12, vcc_lo
	v_add_co_u32 v4, vcc_lo, v4, v11
	v_add_co_ci_u32_e32 v9, vcc_lo, 0, v7, vcc_lo
	v_mul_lo_u32 v10, s19, v4
	v_mad_u64_u32 v[7:8], null, s18, v4, 0
	v_mul_lo_u32 v11, s18, v9
	v_sub_co_u32 v7, vcc_lo, v5, v7
	v_add3_u32 v8, v8, v11, v10
	v_sub_nc_u32_e32 v10, v6, v8
	v_subrev_co_ci_u32_e64 v10, s0, s19, v10, vcc_lo
	v_add_co_u32 v11, s0, v4, 2
	v_add_co_ci_u32_e64 v12, s0, 0, v9, s0
	v_sub_co_u32 v13, s0, v7, s18
	v_sub_co_ci_u32_e32 v8, vcc_lo, v6, v8, vcc_lo
	v_subrev_co_ci_u32_e64 v10, s0, 0, v10, s0
	v_cmp_le_u32_e32 vcc_lo, s18, v13
	v_cmp_eq_u32_e64 s0, s19, v8
	v_cndmask_b32_e64 v13, 0, -1, vcc_lo
	v_cmp_le_u32_e32 vcc_lo, s19, v10
	v_cndmask_b32_e64 v14, 0, -1, vcc_lo
	v_cmp_le_u32_e32 vcc_lo, s18, v7
	;; [unrolled: 2-line block ×3, first 2 shown]
	v_cndmask_b32_e64 v15, 0, -1, vcc_lo
	v_cmp_eq_u32_e32 vcc_lo, s19, v10
	v_cndmask_b32_e64 v7, v15, v7, s0
	v_cndmask_b32_e32 v10, v14, v13, vcc_lo
	v_add_co_u32 v13, vcc_lo, v4, 1
	v_add_co_ci_u32_e32 v14, vcc_lo, 0, v9, vcc_lo
	v_cmp_ne_u32_e32 vcc_lo, 0, v10
	v_cndmask_b32_e32 v8, v14, v12, vcc_lo
	v_cndmask_b32_e32 v10, v13, v11, vcc_lo
	v_cmp_ne_u32_e32 vcc_lo, 0, v7
	v_cndmask_b32_e32 v8, v9, v8, vcc_lo
	v_cndmask_b32_e32 v7, v4, v10, vcc_lo
.LBB0_4:                                ;   in Loop: Header=BB0_2 Depth=1
	s_andn2_saveexec_b32 s0, s1
	s_cbranch_execz .LBB0_6
; %bb.5:                                ;   in Loop: Header=BB0_2 Depth=1
	v_cvt_f32_u32_e32 v4, s18
	s_sub_i32 s1, 0, s18
	v_rcp_iflag_f32_e32 v4, v4
	v_mul_f32_e32 v4, 0x4f7ffffe, v4
	v_cvt_u32_f32_e32 v4, v4
	v_mul_lo_u32 v7, s1, v4
	v_mul_hi_u32 v7, v4, v7
	v_add_nc_u32_e32 v4, v4, v7
	v_mul_hi_u32 v4, v5, v4
	v_mul_lo_u32 v7, v4, s18
	v_add_nc_u32_e32 v8, 1, v4
	v_sub_nc_u32_e32 v7, v5, v7
	v_subrev_nc_u32_e32 v9, s18, v7
	v_cmp_le_u32_e32 vcc_lo, s18, v7
	v_cndmask_b32_e32 v7, v7, v9, vcc_lo
	v_cndmask_b32_e32 v4, v4, v8, vcc_lo
	v_cmp_le_u32_e32 vcc_lo, s18, v7
	v_add_nc_u32_e32 v8, 1, v4
	v_cndmask_b32_e32 v7, v4, v8, vcc_lo
	v_mov_b32_e32 v8, v3
.LBB0_6:                                ;   in Loop: Header=BB0_2 Depth=1
	s_or_b32 exec_lo, exec_lo, s0
	s_load_dwordx2 s[0:1], s[6:7], 0x0
	v_mul_lo_u32 v4, v8, s18
	v_mul_lo_u32 v11, v7, s19
	v_mad_u64_u32 v[9:10], null, v7, s18, 0
	s_add_u32 s16, s16, 1
	s_addc_u32 s17, s17, 0
	s_add_u32 s6, s6, 8
	s_addc_u32 s7, s7, 0
	;; [unrolled: 2-line block ×3, first 2 shown]
	v_add3_u32 v4, v10, v11, v4
	v_sub_co_u32 v5, vcc_lo, v5, v9
	v_sub_co_ci_u32_e32 v4, vcc_lo, v6, v4, vcc_lo
	s_waitcnt lgkmcnt(0)
	v_mul_lo_u32 v6, s1, v5
	v_mul_lo_u32 v4, s0, v4
	v_mad_u64_u32 v[1:2], null, s0, v5, v[1:2]
	v_cmp_ge_u64_e64 s0, s[16:17], s[10:11]
	s_and_b32 vcc_lo, exec_lo, s0
	v_add3_u32 v2, v6, v2, v4
	s_cbranch_vccnz .LBB0_9
; %bb.7:                                ;   in Loop: Header=BB0_2 Depth=1
	v_mov_b32_e32 v5, v7
	v_mov_b32_e32 v6, v8
	s_branch .LBB0_2
.LBB0_8:
	v_mov_b32_e32 v8, v6
	v_mov_b32_e32 v7, v5
.LBB0_9:
	s_lshl_b64 s[0:1], s[10:11], 3
	v_mul_hi_u32 v3, 0x1818182, v0
	s_add_u32 s0, s12, s0
	s_addc_u32 s1, s13, s1
	s_load_dwordx2 s[0:1], s[0:1], 0x0
	s_load_dwordx2 s[4:5], s[4:5], 0x20
	v_mul_u32_u24_e32 v3, 0xaa, v3
	v_sub_nc_u32_e32 v88, v0, v3
	v_lshl_add_u32 v91, v88, 4, 0
	s_waitcnt lgkmcnt(0)
	v_mul_lo_u32 v4, s0, v8
	v_mul_lo_u32 v5, s1, v7
	v_mad_u64_u32 v[1:2], null, s0, v7, v[1:2]
	v_cmp_gt_u64_e32 vcc_lo, s[4:5], v[7:8]
	v_add3_u32 v2, v5, v2, v4
	v_lshlrev_b64 v[0:1], 4, v[1:2]
	buffer_store_dword v0, off, s[56:59], 0 ; 4-byte Folded Spill
	buffer_store_dword v1, off, s[56:59], 0 offset:4 ; 4-byte Folded Spill
	s_and_saveexec_b32 s1, vcc_lo
	s_cbranch_execz .LBB0_11
; %bb.10:
	s_clause 0x1
	buffer_load_dword v2, off, s[56:59], 0
	buffer_load_dword v3, off, s[56:59], 0 offset:4
	v_mov_b32_e32 v89, 0
	v_lshlrev_b64 v[0:1], 4, v[88:89]
	s_waitcnt vmcnt(1)
	v_add_co_u32 v2, s0, s2, v2
	s_waitcnt vmcnt(0)
	v_add_co_ci_u32_e64 v3, s0, s3, v3, s0
	v_add_co_u32 v24, s0, v2, v0
	v_add_co_ci_u32_e64 v25, s0, v3, v1, s0
	v_add_co_u32 v4, s0, 0x800, v24
	v_add_co_ci_u32_e64 v5, s0, 0, v25, s0
	v_add_co_u32 v8, s0, 0x1000, v24
	v_add_co_ci_u32_e64 v9, s0, 0, v25, s0
	v_add_co_u32 v12, s0, 0x1800, v24
	v_add_co_ci_u32_e64 v13, s0, 0, v25, s0
	v_add_co_u32 v16, s0, 0x2800, v24
	v_add_co_ci_u32_e64 v17, s0, 0, v25, s0
	v_add_co_u32 v20, s0, 0x3000, v24
	v_add_co_ci_u32_e64 v21, s0, 0, v25, s0
	v_add_co_u32 v26, s0, 0x3800, v24
	v_add_co_ci_u32_e64 v27, s0, 0, v25, s0
	v_add_co_u32 v28, s0, 0x4800, v24
	v_add_co_ci_u32_e64 v29, s0, 0, v25, s0
	v_add_co_u32 v32, s0, 0x5000, v24
	v_add_co_ci_u32_e64 v33, s0, 0, v25, s0
	v_add_co_u32 v36, s0, 0x5800, v24
	v_add_co_ci_u32_e64 v37, s0, 0, v25, s0
	v_add_co_u32 v40, s0, 0x6800, v24
	v_add_co_ci_u32_e64 v41, s0, 0, v25, s0
	v_add_co_u32 v44, s0, 0x7000, v24
	v_add_co_ci_u32_e64 v45, s0, 0, v25, s0
	s_clause 0xb
	global_load_dwordx4 v[0:3], v[24:25], off
	global_load_dwordx4 v[4:7], v[4:5], off offset:672
	global_load_dwordx4 v[8:11], v[8:9], off offset:1344
	;; [unrolled: 1-line block ×11, first 2 shown]
	s_waitcnt vmcnt(11)
	ds_write_b128 v91, v[0:3]
	s_waitcnt vmcnt(10)
	ds_write_b128 v91, v[4:7] offset:2720
	s_waitcnt vmcnt(9)
	ds_write_b128 v91, v[8:11] offset:5440
	s_waitcnt vmcnt(8)
	ds_write_b128 v91, v[12:15] offset:8160
	s_waitcnt vmcnt(7)
	ds_write_b128 v91, v[16:19] offset:10880
	s_waitcnt vmcnt(6)
	ds_write_b128 v91, v[20:23] offset:13600
	s_waitcnt vmcnt(5)
	ds_write_b128 v91, v[24:27] offset:16320
	s_waitcnt vmcnt(4)
	ds_write_b128 v91, v[28:31] offset:19040
	s_waitcnt vmcnt(3)
	ds_write_b128 v91, v[32:35] offset:21760
	s_waitcnt vmcnt(2)
	ds_write_b128 v91, v[36:39] offset:24480
	s_waitcnt vmcnt(1)
	ds_write_b128 v91, v[40:43] offset:27200
	s_waitcnt vmcnt(0)
	ds_write_b128 v91, v[44:47] offset:29920
.LBB0_11:
	s_or_b32 exec_lo, exec_lo, s1
	s_waitcnt lgkmcnt(0)
	s_waitcnt_vscnt null, 0x0
	s_barrier
	buffer_gl0_inv
	ds_read_b128 v[20:23], v91 offset:30720
	ds_read_b128 v[40:43], v91 offset:1920
	;; [unrolled: 1-line block ×3, first 2 shown]
	ds_read_b128 v[28:31], v91
	ds_read_b128 v[44:47], v91 offset:3840
	ds_read_b128 v[48:51], v91 offset:5760
	s_mov_b32 s10, 0x5d8e7cdc
	s_mov_b32 s11, 0xbfd71e95
	ds_read_b128 v[32:35], v91 offset:26880
	s_mov_b32 s6, 0x2a9d6da3
	s_mov_b32 s7, 0xbfe58eea
	;; [unrolled: 1-line block ×12, first 2 shown]
	s_waitcnt lgkmcnt(5)
	v_add_f64 v[158:159], v[42:43], -v[22:23]
	v_add_f64 v[166:167], v[40:41], -v[20:21]
	v_add_f64 v[154:155], v[40:41], v[20:21]
	s_waitcnt lgkmcnt(2)
	v_add_f64 v[96:97], v[46:47], -v[26:27]
	v_add_f64 v[92:93], v[44:45], -v[24:25]
	v_add_f64 v[94:95], v[44:45], v[24:25]
	s_mov_b32 s18, 0x3259b75e
	s_waitcnt lgkmcnt(0)
	v_add_f64 v[104:105], v[50:51], -v[34:35]
	v_add_f64 v[102:103], v[48:49], -v[32:33]
	v_add_f64 v[100:101], v[48:49], v[32:33]
	s_mov_b32 s19, 0x3fb79ee6
	v_add_f64 v[162:163], v[42:43], v[22:23]
	v_add_f64 v[98:99], v[46:47], v[26:27]
	;; [unrolled: 1-line block ×3, first 2 shown]
	s_mov_b32 s24, 0x923c349f
	s_mov_b32 s25, 0xbfeec746
	;; [unrolled: 1-line block ×8, first 2 shown]
	v_mul_f64 v[0:1], v[158:159], s[10:11]
	v_mul_f64 v[2:3], v[166:167], s[10:11]
	s_mov_b32 s34, 0x4363dd80
	v_mul_f64 v[4:5], v[96:97], s[6:7]
	v_mul_f64 v[6:7], v[92:93], s[6:7]
	s_mov_b32 s35, 0x3fe0d888
	s_mov_b32 s41, 0xbfe0d888
	v_mul_f64 v[8:9], v[104:105], s[12:13]
	v_mul_f64 v[10:11], v[102:103], s[12:13]
	s_mov_b32 s40, s34
	s_mov_b32 s30, 0x910ea3b9
	;; [unrolled: 1-line block ×7, first 2 shown]
	v_mul_f64 v[198:199], v[158:159], s[6:7]
	v_mul_f64 v[200:201], v[166:167], s[6:7]
	s_mov_b32 s43, 0x3feec746
	buffer_store_dword v0, off, s[56:59], 0 offset:40 ; 4-byte Folded Spill
	buffer_store_dword v1, off, s[56:59], 0 offset:44 ; 4-byte Folded Spill
	;; [unrolled: 1-line block ×12, first 2 shown]
	ds_read_b128 v[36:39], v91 offset:24960
	ds_read_b128 v[56:59], v91 offset:7680
	;; [unrolled: 1-line block ×4, first 2 shown]
	s_mov_b32 s42, s24
	s_mov_b32 s51, 0x3feca52d
	s_mov_b32 s50, s12
	s_mov_b32 s45, 0x3fd71e95
	s_mov_b32 s44, s10
	v_mul_f64 v[202:203], v[158:159], s[12:13]
	v_mul_f64 v[204:205], v[166:167], s[12:13]
	v_mul_f64 v[224:225], v[92:93], s[28:29]
	s_mov_b32 s47, 0x3fc7851a
	s_mov_b32 s46, s38
	v_mul_f64 v[14:15], v[96:97], s[38:39]
	v_mul_f64 v[238:239], v[102:103], s[46:47]
	s_mov_b32 s49, 0x3fe58eea
	s_mov_b32 s48, s6
	v_mul_f64 v[206:207], v[158:159], s[20:21]
	v_mul_f64 v[208:209], v[166:167], s[20:21]
	;; [unrolled: 1-line block ×3, first 2 shown]
	s_waitcnt lgkmcnt(2)
	v_add_f64 v[116:117], v[58:59], -v[38:39]
	v_add_f64 v[106:107], v[56:57], v[36:37]
	v_add_f64 v[110:111], v[56:57], -v[36:37]
	v_add_f64 v[118:119], v[58:59], v[38:39]
	s_waitcnt lgkmcnt(0)
	v_add_f64 v[120:121], v[66:67], -v[54:55]
	v_add_f64 v[112:113], v[64:65], v[52:53]
	v_add_f64 v[114:115], v[64:65], -v[52:53]
	v_add_f64 v[124:125], v[66:67], v[54:55]
	v_mul_f64 v[232:233], v[104:105], s[42:43]
	v_mul_f64 v[156:157], v[102:103], s[42:43]
	s_mov_b32 s53, 0x3fe9895b
	s_mov_b32 s52, s28
	v_fma_f64 v[12:13], v[98:99], s[26:27], -v[224:225]
	v_mul_f64 v[210:211], v[158:159], s[24:25]
	v_mul_f64 v[226:227], v[96:97], s[34:35]
	;; [unrolled: 1-line block ×6, first 2 shown]
	s_mov_b32 s55, 0x3fefdd0d
	s_mov_b32 s54, s20
	v_fma_f64 v[16:17], v[98:99], s[36:37], -v[244:245]
	v_mul_f64 v[222:223], v[116:117], s[42:43]
	v_mul_f64 v[242:243], v[116:117], s[44:45]
	;; [unrolled: 1-line block ×11, first 2 shown]
	s_mov_b32 s1, exec_lo
	v_fma_f64 v[160:161], v[98:99], s[30:31], -v[182:183]
	v_fma_f64 v[0:1], v[154:155], s[4:5], v[0:1]
	v_fma_f64 v[2:3], v[162:163], s[4:5], -v[2:3]
	v_fma_f64 v[4:5], v[94:95], s[14:15], v[4:5]
	v_fma_f64 v[6:7], v[98:99], s[14:15], -v[6:7]
	v_add_f64 v[0:1], v[28:29], v[0:1]
	v_add_f64 v[2:3], v[30:31], v[2:3]
	;; [unrolled: 1-line block ×3, first 2 shown]
	v_fma_f64 v[4:5], v[100:101], s[16:17], v[8:9]
	v_add_f64 v[2:3], v[6:7], v[2:3]
	v_fma_f64 v[6:7], v[108:109], s[16:17], -v[10:11]
	v_mul_f64 v[8:9], v[92:93], s[20:21]
	v_add_f64 v[0:1], v[4:5], v[0:1]
	v_mul_f64 v[4:5], v[116:117], s[20:21]
	v_add_f64 v[2:3], v[6:7], v[2:3]
	v_mul_f64 v[6:7], v[96:97], s[20:21]
	buffer_store_dword v4, off, s[56:59], 0 offset:56 ; 4-byte Folded Spill
	buffer_store_dword v5, off, s[56:59], 0 offset:60 ; 4-byte Folded Spill
	v_fma_f64 v[4:5], v[106:107], s[18:19], v[4:5]
	v_add_f64 v[0:1], v[4:5], v[0:1]
	v_mul_f64 v[4:5], v[110:111], s[20:21]
	buffer_store_dword v4, off, s[56:59], 0 offset:64 ; 4-byte Folded Spill
	buffer_store_dword v5, off, s[56:59], 0 offset:68 ; 4-byte Folded Spill
	v_fma_f64 v[4:5], v[118:119], s[18:19], -v[4:5]
	v_add_f64 v[2:3], v[4:5], v[2:3]
	v_mul_f64 v[4:5], v[120:121], s[24:25]
	buffer_store_dword v4, off, s[56:59], 0 offset:72 ; 4-byte Folded Spill
	buffer_store_dword v5, off, s[56:59], 0 offset:76 ; 4-byte Folded Spill
	v_fma_f64 v[4:5], v[112:113], s[22:23], v[4:5]
	v_add_f64 v[0:1], v[4:5], v[0:1]
	v_mul_f64 v[4:5], v[114:115], s[24:25]
	buffer_store_dword v4, off, s[56:59], 0 offset:80 ; 4-byte Folded Spill
	buffer_store_dword v5, off, s[56:59], 0 offset:84 ; 4-byte Folded Spill
	ds_read_b128 v[60:63], v91 offset:21120
	ds_read_b128 v[68:71], v91 offset:11520
	;; [unrolled: 1-line block ×4, first 2 shown]
	s_waitcnt lgkmcnt(2)
	v_add_f64 v[132:133], v[70:71], -v[62:63]
	v_add_f64 v[122:123], v[68:69], v[60:61]
	v_add_f64 v[126:127], v[68:69], -v[60:61]
	v_add_f64 v[134:135], v[70:71], v[62:63]
	s_waitcnt lgkmcnt(0)
	v_add_f64 v[140:141], v[78:79], -v[74:75]
	v_add_f64 v[128:129], v[76:77], v[72:73]
	v_add_f64 v[130:131], v[76:77], -v[72:73]
	v_add_f64 v[142:143], v[78:79], v[74:75]
	v_mul_f64 v[236:237], v[132:133], s[10:11]
	v_mul_f64 v[148:149], v[132:133], s[40:41]
	v_mul_f64 v[216:217], v[126:127], s[42:43]
	v_mul_f64 v[144:145], v[126:127], s[10:11]
	v_mul_f64 v[230:231], v[140:141], s[20:21]
	v_mul_f64 v[178:179], v[126:127], s[40:41]
	v_mul_f64 v[218:219], v[130:131], s[50:51]
	v_mul_f64 v[252:253], v[130:131], s[20:21]
	v_mul_f64 v[152:153], v[140:141], s[52:53]
	v_mul_f64 v[180:181], v[130:131], s[52:53]
	v_mul_f64 v[196:197], v[126:127], s[54:55]
	v_mul_f64 v[186:187], v[130:131], s[10:11]
	v_fma_f64 v[4:5], v[124:125], s[22:23], -v[4:5]
	v_add_f64 v[2:3], v[4:5], v[2:3]
	v_mul_f64 v[4:5], v[132:133], s[28:29]
	buffer_store_dword v4, off, s[56:59], 0 offset:88 ; 4-byte Folded Spill
	buffer_store_dword v5, off, s[56:59], 0 offset:92 ; 4-byte Folded Spill
	v_fma_f64 v[4:5], v[122:123], s[26:27], v[4:5]
	v_add_f64 v[0:1], v[4:5], v[0:1]
	v_mul_f64 v[4:5], v[126:127], s[28:29]
	buffer_store_dword v4, off, s[56:59], 0 offset:96 ; 4-byte Folded Spill
	buffer_store_dword v5, off, s[56:59], 0 offset:100 ; 4-byte Folded Spill
	v_fma_f64 v[4:5], v[134:135], s[26:27], -v[4:5]
	v_add_f64 v[2:3], v[4:5], v[2:3]
	v_mul_f64 v[4:5], v[140:141], s[40:41]
	buffer_store_dword v4, off, s[56:59], 0 offset:104 ; 4-byte Folded Spill
	buffer_store_dword v5, off, s[56:59], 0 offset:108 ; 4-byte Folded Spill
	v_fma_f64 v[4:5], v[128:129], s[30:31], v[4:5]
	v_add_f64 v[0:1], v[4:5], v[0:1]
	v_mul_f64 v[4:5], v[130:131], s[40:41]
	buffer_store_dword v4, off, s[56:59], 0 offset:112 ; 4-byte Folded Spill
	buffer_store_dword v5, off, s[56:59], 0 offset:116 ; 4-byte Folded Spill
	ds_read_b128 v[84:87], v91 offset:15360
	ds_read_b128 v[80:83], v91 offset:17280
	s_waitcnt lgkmcnt(0)
	v_add_f64 v[146:147], v[86:87], -v[82:83]
	v_add_f64 v[136:137], v[84:85], v[80:81]
	v_add_f64 v[138:139], v[84:85], -v[80:81]
	v_add_f64 v[150:151], v[86:87], v[82:83]
	v_mul_f64 v[228:229], v[146:147], s[40:41]
	v_mul_f64 v[254:255], v[146:147], s[48:49]
	;; [unrolled: 1-line block ×5, first 2 shown]
	v_fma_f64 v[4:5], v[142:143], s[30:31], -v[4:5]
	v_add_f64 v[2:3], v[4:5], v[2:3]
	v_mul_f64 v[4:5], v[146:147], s[38:39]
	buffer_store_dword v4, off, s[56:59], 0 offset:120 ; 4-byte Folded Spill
	buffer_store_dword v5, off, s[56:59], 0 offset:124 ; 4-byte Folded Spill
	v_fma_f64 v[4:5], v[136:137], s[36:37], v[4:5]
	v_add_f64 v[0:1], v[4:5], v[0:1]
	v_mul_f64 v[4:5], v[138:139], s[38:39]
	buffer_store_dword v4, off, s[56:59], 0 offset:144 ; 4-byte Folded Spill
	buffer_store_dword v5, off, s[56:59], 0 offset:148 ; 4-byte Folded Spill
	;; [unrolled: 1-line block ×6, first 2 shown]
	v_fma_f64 v[4:5], v[150:151], s[36:37], -v[4:5]
	v_fma_f64 v[6:7], v[94:95], s[18:19], v[6:7]
	v_fma_f64 v[8:9], v[98:99], s[18:19], -v[8:9]
	v_add_f64 v[2:3], v[4:5], v[2:3]
	v_fma_f64 v[4:5], v[154:155], s[14:15], v[198:199]
	v_add_f64 v[4:5], v[28:29], v[4:5]
	v_add_f64 v[4:5], v[6:7], v[4:5]
	v_fma_f64 v[6:7], v[162:163], s[14:15], -v[200:201]
	v_add_f64 v[6:7], v[30:31], v[6:7]
	v_add_f64 v[6:7], v[8:9], v[6:7]
	v_mul_f64 v[8:9], v[104:105], s[28:29]
	buffer_store_dword v8, off, s[56:59], 0 offset:136 ; 4-byte Folded Spill
	buffer_store_dword v9, off, s[56:59], 0 offset:140 ; 4-byte Folded Spill
	v_fma_f64 v[8:9], v[100:101], s[26:27], v[8:9]
	v_add_f64 v[4:5], v[8:9], v[4:5]
	v_mul_f64 v[8:9], v[102:103], s[28:29]
	buffer_store_dword v8, off, s[56:59], 0 offset:184 ; 4-byte Folded Spill
	buffer_store_dword v9, off, s[56:59], 0 offset:188 ; 4-byte Folded Spill
	v_fma_f64 v[8:9], v[108:109], s[26:27], -v[8:9]
	v_add_f64 v[6:7], v[8:9], v[6:7]
	v_mul_f64 v[8:9], v[116:117], s[38:39]
	buffer_store_dword v8, off, s[56:59], 0 offset:152 ; 4-byte Folded Spill
	buffer_store_dword v9, off, s[56:59], 0 offset:156 ; 4-byte Folded Spill
	v_fma_f64 v[8:9], v[106:107], s[36:37], v[8:9]
	v_add_f64 v[4:5], v[8:9], v[4:5]
	v_mul_f64 v[8:9], v[110:111], s[38:39]
	buffer_store_dword v8, off, s[56:59], 0 offset:216 ; 4-byte Folded Spill
	buffer_store_dword v9, off, s[56:59], 0 offset:220 ; 4-byte Folded Spill
	v_fma_f64 v[8:9], v[118:119], s[36:37], -v[8:9]
	;; [unrolled: 10-line block ×3, first 2 shown]
	v_add_f64 v[6:7], v[8:9], v[6:7]
	v_mul_f64 v[8:9], v[132:133], s[42:43]
	buffer_store_dword v8, off, s[56:59], 0 offset:192 ; 4-byte Folded Spill
	buffer_store_dword v9, off, s[56:59], 0 offset:196 ; 4-byte Folded Spill
	v_fma_f64 v[8:9], v[122:123], s[22:23], v[8:9]
	v_add_f64 v[4:5], v[8:9], v[4:5]
	v_fma_f64 v[8:9], v[134:135], s[22:23], -v[216:217]
	v_add_f64 v[6:7], v[8:9], v[6:7]
	v_mul_f64 v[8:9], v[140:141], s[50:51]
	buffer_store_dword v8, off, s[56:59], 0 offset:200 ; 4-byte Folded Spill
	buffer_store_dword v9, off, s[56:59], 0 offset:204 ; 4-byte Folded Spill
	v_fma_f64 v[8:9], v[128:129], s[16:17], v[8:9]
	v_add_f64 v[4:5], v[8:9], v[4:5]
	v_fma_f64 v[8:9], v[142:143], s[16:17], -v[218:219]
	;; [unrolled: 7-line block ×3, first 2 shown]
	v_add_f64 v[10:11], v[4:5], v[6:7]
	v_mul_f64 v[6:7], v[96:97], s[28:29]
	buffer_store_dword v6, off, s[56:59], 0 offset:168 ; 4-byte Folded Spill
	buffer_store_dword v7, off, s[56:59], 0 offset:172 ; 4-byte Folded Spill
	v_fma_f64 v[4:5], v[154:155], s[16:17], v[202:203]
	v_add_f64 v[4:5], v[28:29], v[4:5]
	v_fma_f64 v[6:7], v[94:95], s[26:27], v[6:7]
	v_add_f64 v[4:5], v[6:7], v[4:5]
	v_fma_f64 v[6:7], v[162:163], s[16:17], -v[204:205]
	v_add_f64 v[6:7], v[30:31], v[6:7]
	v_add_f64 v[6:7], v[12:13], v[6:7]
	v_mul_f64 v[12:13], v[104:105], s[46:47]
	buffer_store_dword v12, off, s[56:59], 0 offset:232 ; 4-byte Folded Spill
	buffer_store_dword v13, off, s[56:59], 0 offset:236 ; 4-byte Folded Spill
	;; [unrolled: 1-line block ×4, first 2 shown]
	s_waitcnt_vscnt null, 0x0
	s_barrier
	buffer_gl0_inv
	v_fma_f64 v[12:13], v[100:101], s[36:37], v[12:13]
	v_fma_f64 v[14:15], v[94:95], s[36:37], v[14:15]
	v_add_f64 v[4:5], v[12:13], v[4:5]
	v_fma_f64 v[12:13], v[108:109], s[36:37], -v[238:239]
	v_add_f64 v[6:7], v[12:13], v[6:7]
	v_fma_f64 v[12:13], v[106:107], s[22:23], v[222:223]
	v_add_f64 v[4:5], v[12:13], v[4:5]
	v_fma_f64 v[12:13], v[118:119], s[22:23], -v[248:249]
	v_add_f64 v[6:7], v[12:13], v[6:7]
	;; [unrolled: 4-line block ×6, first 2 shown]
	v_fma_f64 v[12:13], v[154:155], s[18:19], v[206:207]
	v_add_f64 v[12:13], v[28:29], v[12:13]
	v_add_f64 v[12:13], v[14:15], v[12:13]
	v_fma_f64 v[14:15], v[162:163], s[18:19], -v[208:209]
	v_add_f64 v[14:15], v[30:31], v[14:15]
	v_add_f64 v[14:15], v[16:17], v[14:15]
	v_fma_f64 v[16:17], v[100:101], s[22:23], v[232:233]
	v_add_f64 v[12:13], v[16:17], v[12:13]
	v_fma_f64 v[16:17], v[108:109], s[22:23], -v[156:157]
	v_add_f64 v[14:15], v[16:17], v[14:15]
	v_fma_f64 v[16:17], v[106:107], s[4:5], v[242:243]
	v_add_f64 v[12:13], v[16:17], v[12:13]
	v_fma_f64 v[16:17], v[118:119], s[4:5], -v[168:169]
	;; [unrolled: 4-line block ×6, first 2 shown]
	v_add_f64 v[18:19], v[12:13], v[14:15]
	v_fma_f64 v[12:13], v[154:155], s[22:23], v[210:211]
	v_fma_f64 v[14:15], v[94:95], s[30:31], v[226:227]
	v_add_f64 v[12:13], v[28:29], v[12:13]
	v_add_f64 v[12:13], v[14:15], v[12:13]
	v_fma_f64 v[14:15], v[162:163], s[22:23], -v[212:213]
	v_add_f64 v[14:15], v[30:31], v[14:15]
	v_add_f64 v[14:15], v[160:161], v[14:15]
	v_fma_f64 v[160:161], v[100:101], s[14:15], v[240:241]
	v_add_f64 v[12:13], v[160:161], v[12:13]
	v_fma_f64 v[160:161], v[108:109], s[14:15], -v[184:185]
	v_add_f64 v[14:15], v[160:161], v[14:15]
	v_fma_f64 v[160:161], v[106:107], s[16:17], v[250:251]
	v_add_f64 v[12:13], v[160:161], v[12:13]
	v_fma_f64 v[160:161], v[118:119], s[16:17], -v[190:191]
	v_add_f64 v[14:15], v[160:161], v[14:15]
	v_mul_f64 v[160:161], v[120:121], s[38:39]
	v_fma_f64 v[170:171], v[112:113], s[36:37], v[160:161]
	v_add_f64 v[12:13], v[170:171], v[12:13]
	v_fma_f64 v[170:171], v[124:125], s[36:37], -v[194:195]
	v_add_f64 v[14:15], v[170:171], v[14:15]
	v_mul_f64 v[170:171], v[132:133], s[54:55]
	;; [unrolled: 5-line block ×4, first 2 shown]
	v_fma_f64 v[188:189], v[136:137], s[26:27], v[176:177]
	v_add_f64 v[12:13], v[188:189], v[12:13]
	v_mul_f64 v[188:189], v[138:139], s[28:29]
	v_fma_f64 v[214:215], v[150:151], s[26:27], -v[188:189]
	v_add_f64 v[14:15], v[214:215], v[14:15]
	v_cmpx_gt_u32_e32 0x78, v88
	s_cbranch_execz .LBB0_13
; %bb.12:
	v_add_f64 v[40:41], v[28:29], v[40:41]
	v_add_f64 v[42:43], v[30:31], v[42:43]
	;; [unrolled: 1-line block ×4, first 2 shown]
	v_mul_f64 v[46:47], v[154:155], s[18:19]
	v_mul_f64 v[44:45], v[162:163], s[18:19]
	v_add_f64 v[40:41], v[40:41], v[48:49]
	v_add_f64 v[42:43], v[42:43], v[50:51]
	v_mul_f64 v[50:51], v[154:155], s[16:17]
	v_add_f64 v[46:47], v[46:47], -v[206:207]
	v_mul_f64 v[48:49], v[162:163], s[16:17]
	v_add_f64 v[44:45], v[208:209], v[44:45]
	v_add_f64 v[40:41], v[40:41], v[56:57]
	;; [unrolled: 1-line block ×3, first 2 shown]
	s_clause 0x1
	buffer_load_dword v58, off, s[56:59], 0 offset:48
	buffer_load_dword v59, off, s[56:59], 0 offset:52
	v_mul_f64 v[56:57], v[162:163], s[4:5]
	v_add_f64 v[50:51], v[50:51], -v[202:203]
	v_add_f64 v[48:49], v[204:205], v[48:49]
	v_add_f64 v[46:47], v[28:29], v[46:47]
	;; [unrolled: 1-line block ×7, first 2 shown]
	v_mul_f64 v[70:71], v[154:155], s[4:5]
	v_add_f64 v[40:41], v[40:41], v[76:77]
	v_add_f64 v[42:43], v[42:43], v[78:79]
	;; [unrolled: 1-line block ×7, first 2 shown]
	s_clause 0x1
	buffer_load_dword v72, off, s[56:59], 0 offset:40
	buffer_load_dword v73, off, s[56:59], 0 offset:44
	v_add_f64 v[42:43], v[42:43], v[74:75]
	v_add_f64 v[40:41], v[40:41], v[60:61]
	v_mul_f64 v[60:61], v[158:159], s[40:41]
	v_add_f64 v[42:43], v[42:43], v[62:63]
	v_mul_f64 v[62:63], v[158:159], s[28:29]
	v_add_f64 v[40:41], v[40:41], v[52:53]
	v_fma_f64 v[66:67], v[154:155], s[30:31], v[60:61]
	v_add_f64 v[42:43], v[42:43], v[54:55]
	v_mul_f64 v[54:55], v[154:155], s[14:15]
	v_fma_f64 v[60:61], v[154:155], s[30:31], -v[60:61]
	v_fma_f64 v[68:69], v[154:155], s[26:27], v[62:63]
	v_fma_f64 v[62:63], v[154:155], s[26:27], -v[62:63]
	v_mul_f64 v[52:53], v[162:163], s[14:15]
	v_add_f64 v[36:37], v[40:41], v[36:37]
	v_mul_f64 v[40:41], v[162:163], s[22:23]
	v_add_f64 v[38:39], v[42:43], v[38:39]
	v_mul_f64 v[42:43], v[154:155], s[22:23]
	v_add_f64 v[54:55], v[54:55], -v[198:199]
	v_add_f64 v[66:67], v[28:29], v[66:67]
	v_add_f64 v[60:61], v[28:29], v[60:61]
	;; [unrolled: 1-line block ×5, first 2 shown]
	v_mul_f64 v[198:199], v[146:147], s[54:55]
	v_add_f64 v[32:33], v[36:37], v[32:33]
	v_mul_f64 v[36:37], v[162:163], s[26:27]
	v_add_f64 v[34:35], v[38:39], v[34:35]
	v_add_f64 v[42:43], v[42:43], -v[210:211]
	v_add_f64 v[40:41], v[212:213], v[40:41]
	v_add_f64 v[24:25], v[32:33], v[24:25]
	v_mul_f64 v[32:33], v[162:163], s[30:31]
	v_add_f64 v[26:27], v[34:35], v[26:27]
	v_fma_f64 v[38:39], v[166:167], s[52:53], v[36:37]
	v_add_f64 v[84:85], v[28:29], v[42:43]
	v_add_f64 v[42:43], v[28:29], v[50:51]
	v_fma_f64 v[36:37], v[166:167], s[28:29], v[36:37]
	v_add_f64 v[82:83], v[30:31], v[40:41]
	v_add_f64 v[40:41], v[30:31], v[48:49]
	v_mul_f64 v[48:49], v[108:109], s[30:31]
	v_add_f64 v[20:21], v[24:25], v[20:21]
	v_mul_f64 v[24:25], v[162:163], s[36:37]
	v_fma_f64 v[34:35], v[166:167], s[34:35], v[32:33]
	v_add_f64 v[22:23], v[26:27], v[22:23]
	v_add_f64 v[78:79], v[30:31], v[38:39]
	;; [unrolled: 1-line block ×3, first 2 shown]
	v_fma_f64 v[32:33], v[166:167], s[40:41], v[32:33]
	v_add_f64 v[80:81], v[30:31], v[36:37]
	v_add_f64 v[36:37], v[30:31], v[52:53]
	v_fma_f64 v[50:51], v[102:103], s[34:35], v[48:49]
	v_fma_f64 v[48:49], v[102:103], s[40:41], v[48:49]
	v_fma_f64 v[26:27], v[166:167], s[46:47], v[24:25]
	v_fma_f64 v[24:25], v[166:167], s[38:39], v[24:25]
	v_add_f64 v[74:75], v[30:31], v[34:35]
	v_mul_f64 v[166:167], v[150:151], s[18:19]
	v_add_f64 v[76:77], v[30:31], v[32:33]
	v_add_f64 v[26:27], v[30:31], v[26:27]
	s_waitcnt vmcnt(2)
	v_add_f64 v[56:57], v[58:59], v[56:57]
	v_mul_f64 v[58:59], v[158:159], s[38:39]
	v_add_f64 v[32:33], v[30:31], v[56:57]
	v_fma_f64 v[64:65], v[154:155], s[36:37], v[58:59]
	v_fma_f64 v[58:59], v[154:155], s[36:37], -v[58:59]
	v_add_f64 v[64:65], v[28:29], v[64:65]
	v_add_f64 v[58:59], v[28:29], v[58:59]
	s_waitcnt vmcnt(0)
	v_add_f64 v[70:71], v[70:71], -v[72:73]
	v_add_f64 v[72:73], v[30:31], v[24:25]
	v_mul_f64 v[30:31], v[96:97], s[44:45]
	v_add_f64 v[34:35], v[28:29], v[70:71]
	v_mul_f64 v[28:29], v[98:99], s[4:5]
	v_fma_f64 v[24:25], v[92:93], s[10:11], v[28:29]
	v_fma_f64 v[28:29], v[92:93], s[44:45], v[28:29]
	v_add_f64 v[24:25], v[24:25], v[26:27]
	v_fma_f64 v[26:27], v[94:95], s[4:5], v[30:31]
	v_add_f64 v[28:29], v[28:29], v[72:73]
	v_fma_f64 v[30:31], v[94:95], s[4:5], -v[30:31]
	v_add_f64 v[24:25], v[50:51], v[24:25]
	v_mul_f64 v[50:51], v[104:105], s[40:41]
	v_add_f64 v[26:27], v[26:27], v[64:65]
	v_add_f64 v[30:31], v[30:31], v[58:59]
	;; [unrolled: 1-line block ×3, first 2 shown]
	v_fma_f64 v[52:53], v[100:101], s[30:31], v[50:51]
	v_fma_f64 v[48:49], v[100:101], s[30:31], -v[50:51]
	v_fma_f64 v[50:51], v[136:137], s[18:19], -v[198:199]
	v_add_f64 v[26:27], v[52:53], v[26:27]
	v_mul_f64 v[52:53], v[118:119], s[14:15]
	v_add_f64 v[30:31], v[48:49], v[30:31]
	v_fma_f64 v[54:55], v[110:111], s[6:7], v[52:53]
	v_fma_f64 v[48:49], v[110:111], s[48:49], v[52:53]
	v_add_f64 v[24:25], v[54:55], v[24:25]
	v_mul_f64 v[54:55], v[116:117], s[48:49]
	v_add_f64 v[28:29], v[48:49], v[28:29]
	v_fma_f64 v[56:57], v[106:107], s[14:15], v[54:55]
	v_fma_f64 v[48:49], v[106:107], s[14:15], -v[54:55]
	v_add_f64 v[26:27], v[56:57], v[26:27]
	v_mul_f64 v[56:57], v[124:125], s[26:27]
	v_add_f64 v[30:31], v[48:49], v[30:31]
	v_fma_f64 v[64:65], v[114:115], s[52:53], v[56:57]
	v_fma_f64 v[48:49], v[114:115], s[28:29], v[56:57]
	v_add_f64 v[24:25], v[64:65], v[24:25]
	v_mul_f64 v[64:65], v[120:121], s[28:29]
	v_add_f64 v[28:29], v[48:49], v[28:29]
	v_fma_f64 v[70:71], v[112:113], s[26:27], v[64:65]
	;; [unrolled: 10-line block ×3, first 2 shown]
	v_fma_f64 v[48:49], v[122:123], s[16:17], -v[86:87]
	v_add_f64 v[26:27], v[154:155], v[26:27]
	v_mul_f64 v[154:155], v[142:143], s[22:23]
	v_add_f64 v[30:31], v[48:49], v[30:31]
	v_fma_f64 v[158:159], v[130:131], s[42:43], v[154:155]
	v_fma_f64 v[48:49], v[130:131], s[24:25], v[154:155]
	v_mul_f64 v[154:155], v[140:141], s[38:39]
	v_add_f64 v[24:25], v[158:159], v[24:25]
	v_mul_f64 v[158:159], v[140:141], s[24:25]
	v_add_f64 v[28:29], v[48:49], v[28:29]
	v_fma_f64 v[48:49], v[128:129], s[22:23], -v[158:159]
	v_fma_f64 v[162:163], v[128:129], s[22:23], v[158:159]
	v_mul_f64 v[158:159], v[146:147], s[50:51]
	v_add_f64 v[48:49], v[48:49], v[30:31]
	v_fma_f64 v[30:31], v[138:139], s[54:55], v[166:167]
	v_add_f64 v[162:163], v[162:163], v[26:27]
	v_fma_f64 v[26:27], v[138:139], s[20:21], v[166:167]
	v_add_f64 v[30:31], v[30:31], v[28:29]
	v_add_f64 v[28:29], v[50:51], v[48:49]
	s_clause 0x9
	buffer_load_dword v50, off, s[56:59], 0 offset:16
	buffer_load_dword v51, off, s[56:59], 0 offset:20
	;; [unrolled: 1-line block ×10, first 2 shown]
	v_mul_f64 v[48:49], v[98:99], s[14:15]
	s_clause 0x7
	buffer_load_dword v64, off, s[56:59], 0 offset:56
	buffer_load_dword v65, off, s[56:59], 0 offset:60
	;; [unrolled: 1-line block ×8, first 2 shown]
	v_add_f64 v[26:27], v[26:27], v[24:25]
	v_fma_f64 v[24:25], v[136:137], s[18:19], v[198:199]
	v_add_f64 v[24:25], v[24:25], v[162:163]
	s_waitcnt vmcnt(16)
	v_add_f64 v[48:49], v[50:51], v[48:49]
	v_mul_f64 v[50:51], v[94:95], s[14:15]
	v_add_f64 v[32:33], v[48:49], v[32:33]
	s_waitcnt vmcnt(14)
	v_add_f64 v[50:51], v[50:51], -v[52:53]
	v_mul_f64 v[52:53], v[108:109], s[16:17]
	v_mul_f64 v[48:49], v[122:123], s[26:27]
	v_add_f64 v[34:35], v[50:51], v[34:35]
	s_waitcnt vmcnt(12)
	v_add_f64 v[52:53], v[54:55], v[52:53]
	v_mul_f64 v[54:55], v[100:101], s[16:17]
	s_clause 0x1
	buffer_load_dword v50, off, s[56:59], 0 offset:88
	buffer_load_dword v51, off, s[56:59], 0 offset:92
	v_add_f64 v[32:33], v[52:53], v[32:33]
	s_waitcnt vmcnt(12)
	v_add_f64 v[54:55], v[54:55], -v[56:57]
	v_mul_f64 v[56:57], v[118:119], s[18:19]
	s_clause 0x1
	buffer_load_dword v52, off, s[56:59], 0 offset:112
	buffer_load_dword v53, off, s[56:59], 0 offset:116
	v_add_f64 v[34:35], v[54:55], v[34:35]
	s_waitcnt vmcnt(12)
	v_add_f64 v[56:57], v[58:59], v[56:57]
	s_clause 0x1
	buffer_load_dword v54, off, s[56:59], 0 offset:104
	buffer_load_dword v55, off, s[56:59], 0 offset:108
	v_mul_f64 v[58:59], v[106:107], s[18:19]
	v_add_f64 v[32:33], v[56:57], v[32:33]
	s_clause 0x1
	buffer_load_dword v56, off, s[56:59], 0 offset:144
	buffer_load_dword v57, off, s[56:59], 0 offset:148
	s_waitcnt vmcnt(14)
	v_add_f64 v[58:59], v[58:59], -v[64:65]
	v_mul_f64 v[64:65], v[124:125], s[22:23]
	v_add_f64 v[34:35], v[58:59], v[34:35]
	s_waitcnt vmcnt(12)
	v_add_f64 v[64:65], v[70:71], v[64:65]
	v_mul_f64 v[70:71], v[112:113], s[22:23]
	v_add_f64 v[32:33], v[64:65], v[32:33]
	s_waitcnt vmcnt(10)
	v_add_f64 v[70:71], v[70:71], -v[72:73]
	v_mul_f64 v[72:73], v[134:135], s[26:27]
	v_add_f64 v[34:35], v[70:71], v[34:35]
	s_waitcnt vmcnt(8)
	v_add_f64 v[72:73], v[86:87], v[72:73]
	v_mul_f64 v[86:87], v[96:97], s[42:43]
	v_add_f64 v[32:33], v[72:73], v[32:33]
	s_waitcnt vmcnt(6)
	v_add_f64 v[48:49], v[48:49], -v[50:51]
	v_mul_f64 v[50:51], v[142:143], s[30:31]
	v_add_f64 v[34:35], v[48:49], v[34:35]
	s_waitcnt vmcnt(4)
	v_add_f64 v[50:51], v[52:53], v[50:51]
	v_mul_f64 v[52:53], v[128:129], s[30:31]
	v_mul_f64 v[48:49], v[136:137], s[36:37]
	v_add_f64 v[32:33], v[50:51], v[32:33]
	s_waitcnt vmcnt(2)
	v_add_f64 v[52:53], v[52:53], -v[54:55]
	v_mul_f64 v[54:55], v[150:151], s[36:37]
	v_add_f64 v[50:51], v[52:53], v[34:35]
	s_waitcnt vmcnt(0)
	v_add_f64 v[54:55], v[56:57], v[54:55]
	s_clause 0x1
	buffer_load_dword v56, off, s[56:59], 0 offset:120
	buffer_load_dword v57, off, s[56:59], 0 offset:124
	v_add_f64 v[34:35], v[54:55], v[32:33]
	s_waitcnt vmcnt(0)
	v_add_f64 v[48:49], v[48:49], -v[56:57]
	v_add_f64 v[32:33], v[48:49], v[50:51]
	s_clause 0x9
	buffer_load_dword v50, off, s[56:59], 0 offset:160
	buffer_load_dword v51, off, s[56:59], 0 offset:164
	;; [unrolled: 1-line block ×10, first 2 shown]
	v_mul_f64 v[48:49], v[98:99], s[18:19]
	s_clause 0x5
	buffer_load_dword v64, off, s[56:59], 0 offset:152
	buffer_load_dword v65, off, s[56:59], 0 offset:156
	;; [unrolled: 1-line block ×6, first 2 shown]
	s_waitcnt vmcnt(14)
	v_add_f64 v[48:49], v[50:51], v[48:49]
	v_mul_f64 v[50:51], v[94:95], s[18:19]
	v_add_f64 v[36:37], v[48:49], v[36:37]
	s_waitcnt vmcnt(12)
	v_add_f64 v[50:51], v[50:51], -v[52:53]
	v_mul_f64 v[52:53], v[108:109], s[26:27]
	v_mul_f64 v[48:49], v[122:123], s[22:23]
	v_add_f64 v[38:39], v[50:51], v[38:39]
	s_waitcnt vmcnt(10)
	v_add_f64 v[52:53], v[54:55], v[52:53]
	v_mul_f64 v[54:55], v[100:101], s[26:27]
	s_clause 0x1
	buffer_load_dword v50, off, s[56:59], 0 offset:192
	buffer_load_dword v51, off, s[56:59], 0 offset:196
	v_add_f64 v[36:37], v[52:53], v[36:37]
	s_waitcnt vmcnt(10)
	v_add_f64 v[54:55], v[54:55], -v[56:57]
	v_mul_f64 v[56:57], v[118:119], s[36:37]
	v_mul_f64 v[52:53], v[128:129], s[16:17]
	v_add_f64 v[38:39], v[54:55], v[38:39]
	s_waitcnt vmcnt(8)
	v_add_f64 v[56:57], v[58:59], v[56:57]
	s_clause 0x1
	buffer_load_dword v54, off, s[56:59], 0 offset:200
	buffer_load_dword v55, off, s[56:59], 0 offset:204
	v_mul_f64 v[58:59], v[106:107], s[36:37]
	v_add_f64 v[36:37], v[56:57], v[36:37]
	s_clause 0x1
	buffer_load_dword v56, off, s[56:59], 0 offset:208
	buffer_load_dword v57, off, s[56:59], 0 offset:212
	s_waitcnt vmcnt(10)
	v_add_f64 v[58:59], v[58:59], -v[64:65]
	v_mul_f64 v[64:65], v[124:125], s[30:31]
	v_add_f64 v[38:39], v[58:59], v[38:39]
	s_waitcnt vmcnt(8)
	v_add_f64 v[64:65], v[70:71], v[64:65]
	v_mul_f64 v[70:71], v[112:113], s[30:31]
	v_mul_f64 v[58:59], v[100:101], s[36:37]
	v_add_f64 v[36:37], v[64:65], v[36:37]
	s_waitcnt vmcnt(6)
	v_add_f64 v[70:71], v[70:71], -v[72:73]
	v_mul_f64 v[72:73], v[134:135], s[22:23]
	v_add_f64 v[38:39], v[70:71], v[38:39]
	v_add_f64 v[72:73], v[216:217], v[72:73]
	v_mul_f64 v[70:71], v[112:113], s[14:15]
	v_add_f64 v[36:37], v[72:73], v[36:37]
	v_add_f64 v[70:71], v[70:71], -v[234:235]
	v_mul_f64 v[72:73], v[134:135], s[4:5]
	v_add_f64 v[72:73], v[144:145], v[72:73]
	v_mul_f64 v[144:145], v[116:117], s[40:41]
	s_waitcnt vmcnt(4)
	v_add_f64 v[48:49], v[48:49], -v[50:51]
	v_mul_f64 v[50:51], v[142:143], s[16:17]
	v_add_f64 v[38:39], v[48:49], v[38:39]
	v_mul_f64 v[48:49], v[136:137], s[4:5]
	v_add_f64 v[50:51], v[218:219], v[50:51]
	s_waitcnt vmcnt(2)
	v_add_f64 v[52:53], v[52:53], -v[54:55]
	v_mul_f64 v[54:55], v[150:151], s[4:5]
	v_add_f64 v[36:37], v[50:51], v[36:37]
	s_waitcnt vmcnt(0)
	v_add_f64 v[48:49], v[48:49], -v[56:57]
	s_clause 0x3
	buffer_load_dword v56, off, s[56:59], 0 offset:168
	buffer_load_dword v57, off, s[56:59], 0 offset:172
	;; [unrolled: 1-line block ×4, first 2 shown]
	v_add_f64 v[54:55], v[220:221], v[54:55]
	v_add_f64 v[50:51], v[52:53], v[38:39]
	v_mul_f64 v[52:53], v[118:119], s[22:23]
	v_add_f64 v[38:39], v[54:55], v[36:37]
	v_mul_f64 v[54:55], v[94:95], s[26:27]
	v_add_f64 v[36:37], v[48:49], v[50:51]
	v_mul_f64 v[48:49], v[98:99], s[26:27]
	v_mul_f64 v[50:51], v[108:109], s[36:37]
	v_add_f64 v[52:53], v[248:249], v[52:53]
	v_add_f64 v[48:49], v[224:225], v[48:49]
	;; [unrolled: 1-line block ×4, first 2 shown]
	v_mul_f64 v[48:49], v[122:123], s[4:5]
	v_add_f64 v[40:41], v[50:51], v[40:41]
	v_add_f64 v[48:49], v[48:49], -v[236:237]
	v_mul_f64 v[50:51], v[142:143], s[18:19]
	v_add_f64 v[40:41], v[52:53], v[40:41]
	v_mul_f64 v[52:53], v[128:129], s[18:19]
	v_add_f64 v[50:51], v[252:253], v[50:51]
	v_add_f64 v[52:53], v[52:53], -v[230:231]
	s_waitcnt vmcnt(2)
	v_add_f64 v[54:55], v[54:55], -v[56:57]
	s_waitcnt vmcnt(0)
	v_add_f64 v[58:59], v[58:59], -v[64:65]
	v_mul_f64 v[64:65], v[106:107], s[22:23]
	v_mul_f64 v[56:57], v[124:125], s[14:15]
	v_add_f64 v[42:43], v[54:55], v[42:43]
	v_mul_f64 v[54:55], v[150:151], s[30:31]
	v_add_f64 v[64:65], v[64:65], -v[222:223]
	v_add_f64 v[56:57], v[164:165], v[56:57]
	v_add_f64 v[42:43], v[58:59], v[42:43]
	s_clause 0x1
	buffer_load_dword v58, off, s[56:59], 0 offset:240
	buffer_load_dword v59, off, s[56:59], 0 offset:244
	v_add_f64 v[54:55], v[246:247], v[54:55]
	v_add_f64 v[40:41], v[56:57], v[40:41]
	v_mul_f64 v[56:57], v[94:95], s[36:37]
	v_add_f64 v[42:43], v[64:65], v[42:43]
	v_mul_f64 v[64:65], v[106:107], s[4:5]
	v_add_f64 v[40:41], v[72:73], v[40:41]
	v_mul_f64 v[72:73], v[134:135], s[30:31]
	v_add_f64 v[42:43], v[70:71], v[42:43]
	v_add_f64 v[64:65], v[64:65], -v[242:243]
	v_mul_f64 v[70:71], v[112:113], s[16:17]
	v_add_f64 v[40:41], v[50:51], v[40:41]
	v_add_f64 v[72:73], v[178:179], v[72:73]
	v_add_f64 v[42:43], v[48:49], v[42:43]
	v_mul_f64 v[48:49], v[136:137], s[30:31]
	v_add_f64 v[70:71], v[70:71], -v[89:90]
	v_mul_f64 v[89:90], v[104:105], s[10:11]
	v_add_f64 v[50:51], v[52:53], v[42:43]
	v_add_f64 v[48:49], v[48:49], -v[228:229]
	v_add_f64 v[42:43], v[54:55], v[40:41]
	v_mul_f64 v[52:53], v[108:109], s[22:23]
	v_mul_f64 v[54:55], v[118:119], s[4:5]
	v_add_f64 v[40:41], v[48:49], v[50:51]
	v_mul_f64 v[50:51], v[98:99], s[36:37]
	v_add_f64 v[52:53], v[156:157], v[52:53]
	;; [unrolled: 2-line block ×4, first 2 shown]
	v_add_f64 v[48:49], v[192:193], v[48:49]
	v_add_f64 v[44:45], v[50:51], v[44:45]
	v_mul_f64 v[50:51], v[122:123], s[30:31]
	v_add_f64 v[44:45], v[52:53], v[44:45]
	v_mul_f64 v[52:53], v[142:143], s[26:27]
	v_add_f64 v[50:51], v[50:51], -v[148:149]
	v_mul_f64 v[148:149], v[120:121], s[54:55]
	v_add_f64 v[44:45], v[54:55], v[44:45]
	v_add_f64 v[52:53], v[180:181], v[52:53]
	v_mul_f64 v[54:55], v[128:129], s[26:27]
	v_add_f64 v[44:45], v[48:49], v[44:45]
	v_mul_f64 v[48:49], v[150:151], s[14:15]
	v_add_f64 v[54:55], v[54:55], -v[152:153]
	v_mul_f64 v[152:153], v[132:133], s[6:7]
	v_add_f64 v[44:45], v[72:73], v[44:45]
	v_add_f64 v[48:49], v[174:175], v[48:49]
	v_mul_f64 v[72:73], v[118:119], s[30:31]
	v_add_f64 v[44:45], v[52:53], v[44:45]
	s_waitcnt vmcnt(0)
	v_add_f64 v[56:57], v[56:57], -v[58:59]
	v_mul_f64 v[58:59], v[100:101], s[22:23]
	v_add_f64 v[46:47], v[56:57], v[46:47]
	v_add_f64 v[58:59], v[58:59], -v[232:233]
	v_mul_f64 v[56:57], v[106:107], s[16:17]
	v_add_f64 v[46:47], v[58:59], v[46:47]
	v_add_f64 v[56:57], v[56:57], -v[250:251]
	v_add_f64 v[46:47], v[64:65], v[46:47]
	v_mul_f64 v[64:65], v[98:99], s[22:23]
	v_add_f64 v[46:47], v[70:71], v[46:47]
	v_mul_f64 v[70:71], v[108:109], s[4:5]
	;; [unrolled: 2-line block ×3, first 2 shown]
	v_add_f64 v[52:53], v[54:55], v[46:47]
	v_add_f64 v[50:51], v[50:51], -v[254:255]
	v_add_f64 v[46:47], v[48:49], v[44:45]
	v_mul_f64 v[48:49], v[98:99], s[30:31]
	v_mul_f64 v[54:55], v[100:101], s[14:15]
	v_add_f64 v[44:45], v[50:51], v[52:53]
	v_mul_f64 v[50:51], v[108:109], s[14:15]
	v_add_f64 v[48:49], v[182:183], v[48:49]
	v_mul_f64 v[52:53], v[118:119], s[16:17]
	v_add_f64 v[54:55], v[54:55], -v[240:241]
	v_add_f64 v[50:51], v[184:185], v[50:51]
	v_add_f64 v[48:49], v[48:49], v[82:83]
	;; [unrolled: 1-line block ×3, first 2 shown]
	v_mul_f64 v[82:83], v[134:135], s[14:15]
	v_add_f64 v[48:49], v[50:51], v[48:49]
	v_mul_f64 v[50:51], v[124:125], s[36:37]
	v_add_f64 v[48:49], v[52:53], v[48:49]
	v_add_f64 v[50:51], v[194:195], v[50:51]
	v_mul_f64 v[52:53], v[134:135], s[18:19]
	v_add_f64 v[48:49], v[50:51], v[48:49]
	v_mul_f64 v[50:51], v[94:95], s[30:31]
	v_add_f64 v[52:53], v[196:197], v[52:53]
	v_add_f64 v[50:51], v[50:51], -v[226:227]
	v_add_f64 v[48:49], v[52:53], v[48:49]
	v_mul_f64 v[52:53], v[128:129], s[4:5]
	v_add_f64 v[50:51], v[50:51], v[84:85]
	v_mul_f64 v[84:85], v[142:143], s[36:37]
	v_add_f64 v[52:53], v[52:53], -v[172:173]
	v_add_f64 v[50:51], v[54:55], v[50:51]
	v_mul_f64 v[54:55], v[112:113], s[36:37]
	v_add_f64 v[50:51], v[56:57], v[50:51]
	v_add_f64 v[54:55], v[54:55], -v[160:161]
	v_mul_f64 v[56:57], v[122:123], s[18:19]
	v_add_f64 v[50:51], v[54:55], v[50:51]
	v_mul_f64 v[54:55], v[142:143], s[4:5]
	v_add_f64 v[56:57], v[56:57], -v[170:171]
	v_add_f64 v[54:55], v[186:187], v[54:55]
	v_add_f64 v[50:51], v[56:57], v[50:51]
	v_mul_f64 v[56:57], v[150:151], s[26:27]
	v_add_f64 v[48:49], v[54:55], v[48:49]
	v_mul_f64 v[54:55], v[136:137], s[26:27]
	v_add_f64 v[56:57], v[188:189], v[56:57]
	v_add_f64 v[52:53], v[52:53], v[50:51]
	v_add_f64 v[54:55], v[54:55], -v[176:177]
	v_add_f64 v[50:51], v[56:57], v[48:49]
	v_fma_f64 v[56:57], v[100:101], s[4:5], -v[89:90]
	v_add_f64 v[48:49], v[54:55], v[52:53]
	v_fma_f64 v[52:53], v[92:93], s[42:43], v[64:65]
	v_fma_f64 v[54:55], v[102:103], s[10:11], v[70:71]
	;; [unrolled: 1-line block ×4, first 2 shown]
	v_add_f64 v[52:53], v[52:53], v[80:81]
	v_mul_f64 v[80:81], v[124:125], s[18:19]
	v_add_f64 v[64:65], v[64:65], v[78:79]
	v_add_f64 v[52:53], v[54:55], v[52:53]
	v_fma_f64 v[54:55], v[110:111], s[40:41], v[72:73]
	v_fma_f64 v[72:73], v[110:111], s[34:35], v[72:73]
	v_add_f64 v[64:65], v[70:71], v[64:65]
	v_fma_f64 v[70:71], v[114:115], s[20:21], v[80:81]
	v_add_f64 v[52:53], v[54:55], v[52:53]
	;; [unrolled: 2-line block ×8, first 2 shown]
	v_fma_f64 v[54:55], v[94:95], s[22:23], -v[86:87]
	v_add_f64 v[64:65], v[70:71], v[64:65]
	v_fma_f64 v[70:71], v[136:137], s[16:17], v[158:159]
	v_add_f64 v[54:55], v[54:55], v[62:63]
	v_mul_f64 v[62:63], v[98:99], s[16:17]
	v_add_f64 v[54:55], v[56:57], v[54:55]
	v_fma_f64 v[56:57], v[106:107], s[30:31], -v[144:145]
	v_add_f64 v[54:55], v[56:57], v[54:55]
	v_fma_f64 v[56:57], v[112:113], s[18:19], -v[148:149]
	;; [unrolled: 2-line block ×4, first 2 shown]
	v_add_f64 v[56:57], v[56:57], v[54:55]
	v_fma_f64 v[54:55], v[138:139], s[50:51], v[156:157]
	v_add_f64 v[54:55], v[54:55], v[52:53]
	v_fma_f64 v[52:53], v[136:137], s[16:17], -v[158:159]
	v_add_f64 v[52:53], v[52:53], v[56:57]
	v_fma_f64 v[56:57], v[92:93], s[50:51], v[62:63]
	v_fma_f64 v[62:63], v[92:93], s[12:13], v[62:63]
	v_add_f64 v[56:57], v[56:57], v[76:77]
	v_mul_f64 v[76:77], v[96:97], s[50:51]
	v_add_f64 v[62:63], v[62:63], v[74:75]
	v_fma_f64 v[58:59], v[94:95], s[16:17], -v[76:77]
	v_fma_f64 v[74:75], v[94:95], s[16:17], v[76:77]
	v_add_f64 v[58:59], v[58:59], v[60:61]
	v_mul_f64 v[60:61], v[108:109], s[18:19]
	v_add_f64 v[66:67], v[74:75], v[66:67]
	v_fma_f64 v[96:97], v[102:103], s[20:21], v[60:61]
	v_fma_f64 v[60:61], v[102:103], s[54:55], v[60:61]
	v_add_f64 v[56:57], v[96:97], v[56:57]
	v_mul_f64 v[96:97], v[104:105], s[20:21]
	v_add_f64 v[60:61], v[60:61], v[62:63]
	v_fma_f64 v[98:99], v[100:101], s[18:19], -v[96:97]
	v_fma_f64 v[62:63], v[100:101], s[18:19], v[96:97]
	v_add_f64 v[58:59], v[98:99], v[58:59]
	v_mul_f64 v[98:99], v[118:119], s[26:27]
	;; [unrolled: 10-line block ×5, first 2 shown]
	v_add_f64 v[62:63], v[66:67], v[62:63]
	v_mul_f64 v[142:143], v[146:147], s[24:25]
	v_fma_f64 v[132:133], v[130:131], s[48:49], v[124:125]
	v_fma_f64 v[66:67], v[130:131], s[6:7], v[124:125]
	;; [unrolled: 1-line block ×3, first 2 shown]
	v_add_f64 v[56:57], v[132:133], v[56:57]
	v_mul_f64 v[132:133], v[140:141], s[48:49]
	v_mul_f64 v[140:141], v[150:151], s[22:23]
	v_add_f64 v[60:61], v[66:67], v[60:61]
	v_fma_f64 v[66:67], v[128:129], s[14:15], v[132:133]
	v_fma_f64 v[134:135], v[128:129], s[14:15], -v[132:133]
	v_add_f64 v[66:67], v[66:67], v[62:63]
	v_fma_f64 v[62:63], v[138:139], s[42:43], v[140:141]
	v_add_f64 v[134:135], v[134:135], v[58:59]
	v_fma_f64 v[58:59], v[138:139], s[24:25], v[140:141]
	v_add_f64 v[62:63], v[62:63], v[60:61]
	v_add_f64 v[60:61], v[74:75], v[66:67]
	v_fma_f64 v[66:67], v[94:95], s[22:23], v[86:87]
	v_add_f64 v[58:59], v[58:59], v[56:57]
	v_fma_f64 v[56:57], v[136:137], s[22:23], -v[142:143]
	v_add_f64 v[66:67], v[66:67], v[68:69]
	v_fma_f64 v[68:69], v[100:101], s[4:5], v[89:90]
	v_add_f64 v[56:57], v[56:57], v[134:135]
	v_add_f64 v[66:67], v[68:69], v[66:67]
	v_fma_f64 v[68:69], v[106:107], s[30:31], v[144:145]
	v_add_f64 v[66:67], v[68:69], v[66:67]
	v_fma_f64 v[68:69], v[112:113], s[18:19], v[148:149]
	;; [unrolled: 2-line block ×4, first 2 shown]
	v_add_f64 v[68:69], v[68:69], v[66:67]
	v_add_f64 v[66:67], v[72:73], v[64:65]
	;; [unrolled: 1-line block ×3, first 2 shown]
	v_lshl_add_u32 v68, v88, 8, v91
	ds_write_b128 v68, v[20:23]
	ds_write_b128 v68, v[32:35] offset:16
	ds_write_b128 v68, v[36:39] offset:32
	;; [unrolled: 1-line block ×16, first 2 shown]
.LBB0_13:
	s_or_b32 exec_lo, exec_lo, s1
	v_and_b32_e32 v79, 0xff, v88
	v_add_nc_u32_e32 v80, 0xaa, v88
	v_mov_b32_e32 v23, 0xf0f1
	v_add_nc_u32_e32 v82, 0x154, v88
	v_mov_b32_e32 v35, 3
	v_mul_lo_u16 v20, 0xf1, v79
	s_waitcnt lgkmcnt(0)
	v_mul_u32_u24_sdwa v22, v80, v23 dst_sel:DWORD dst_unused:UNUSED_PAD src0_sel:WORD_0 src1_sel:DWORD
	v_mul_u32_u24_sdwa v81, v82, v23 dst_sel:DWORD dst_unused:UNUSED_PAD src0_sel:WORD_0 src1_sel:DWORD
	s_barrier
	v_lshrrev_b16 v20, 12, v20
	buffer_gl0_inv
	v_lshrrev_b32_e32 v21, 20, v22
	v_lshrrev_b32_e32 v87, 20, v81
	;; [unrolled: 1-line block ×3, first 2 shown]
	v_mul_lo_u16 v24, v20, 17
	s_mov_b32 s0, 0xe8584caa
	v_mul_lo_u16 v25, v21, 17
	v_mul_lo_u16 v27, v87, 17
	s_mov_b32 s1, 0x3febb67a
	v_sub_nc_u16 v24, v88, v24
	s_mov_b32 s5, 0xbfebb67a
	v_sub_nc_u16 v25, v80, v25
	s_mov_b32 s4, s0
	v_mul_u32_u24_sdwa v26, v24, v35 dst_sel:DWORD dst_unused:UNUSED_PAD src0_sel:BYTE_0 src1_sel:DWORD
	v_mul_u32_u24_sdwa v37, v25, v35 dst_sel:DWORD dst_unused:UNUSED_PAD src0_sel:WORD_0 src1_sel:DWORD
	v_lshlrev_b32_e32 v36, 4, v26
	v_sub_nc_u16 v26, v82, v27
	v_lshlrev_b32_e32 v47, 4, v37
	s_clause 0x1
	global_load_dwordx4 v[27:30], v36, s[8:9] offset:16
	global_load_dwordx4 v[31:34], v36, s[8:9]
	v_mul_u32_u24_sdwa v43, v26, v35 dst_sel:DWORD dst_unused:UNUSED_PAD src0_sel:WORD_0 src1_sel:DWORD
	s_clause 0x1
	global_load_dwordx4 v[35:38], v36, s[8:9] offset:32
	global_load_dwordx4 v[39:42], v47, s[8:9]
	v_lshlrev_b32_e32 v59, 4, v43
	s_clause 0x4
	global_load_dwordx4 v[43:46], v47, s[8:9] offset:16
	global_load_dwordx4 v[47:50], v47, s[8:9] offset:32
	global_load_dwordx4 v[51:54], v59, s[8:9]
	global_load_dwordx4 v[55:58], v59, s[8:9] offset:16
	global_load_dwordx4 v[59:62], v59, s[8:9] offset:32
	ds_read_b128 v[63:66], v91 offset:8160
	ds_read_b128 v[67:70], v91 offset:16320
	;; [unrolled: 1-line block ×10, first 2 shown]
	ds_read_b128 v[112:115], v91
	ds_read_b128 v[116:119], v91 offset:2720
	s_waitcnt vmcnt(0) lgkmcnt(0)
	s_barrier
	buffer_gl0_inv
	v_mul_f64 v[120:121], v[69:70], v[29:30]
	v_mul_f64 v[89:90], v[65:66], v[33:34]
	;; [unrolled: 1-line block ×18, first 2 shown]
	v_fma_f64 v[63:64], v[63:64], v[31:32], -v[89:90]
	v_fma_f64 v[31:32], v[65:66], v[31:32], v[33:34]
	v_fma_f64 v[33:34], v[67:68], v[27:28], -v[120:121]
	v_fma_f64 v[27:28], v[69:70], v[27:28], v[29:30]
	;; [unrolled: 2-line block ×9, first 2 shown]
	v_add_nc_u32_e32 v84, 0x1fe, v88
	v_mov_b32_e32 v83, 4
	v_mov_b32_e32 v89, 5
	v_mul_u32_u24_sdwa v23, v84, v23 dst_sel:DWORD dst_unused:UNUSED_PAD src0_sel:WORD_0 src1_sel:DWORD
	v_add_f64 v[61:62], v[112:113], -v[33:34]
	v_add_f64 v[65:66], v[114:115], -v[27:28]
	;; [unrolled: 1-line block ×4, first 2 shown]
	v_lshlrev_b32_sdwa v24, v83, v24 dst_sel:DWORD dst_unused:UNUSED_PAD src0_sel:DWORD src1_sel:BYTE_0
	v_lshlrev_b32_sdwa v25, v83, v25 dst_sel:DWORD dst_unused:UNUSED_PAD src0_sel:DWORD src1_sel:WORD_0
	v_add_f64 v[67:68], v[116:117], -v[41:42]
	v_add_f64 v[69:70], v[118:119], -v[43:44]
	;; [unrolled: 1-line block ×4, first 2 shown]
	v_lshlrev_b32_sdwa v26, v83, v26 dst_sel:DWORD dst_unused:UNUSED_PAD src0_sel:DWORD src1_sel:WORD_0
	v_add_f64 v[71:72], v[108:109], -v[53:54]
	v_add_f64 v[73:74], v[110:111], -v[55:56]
	;; [unrolled: 1-line block ×4, first 2 shown]
	v_fma_f64 v[53:54], v[112:113], 2.0, -v[61:62]
	v_fma_f64 v[57:58], v[114:115], 2.0, -v[65:66]
	;; [unrolled: 1-line block ×4, first 2 shown]
	v_mul_lo_u16 v31, 0x79, v79
	v_add_f64 v[27:28], v[61:62], -v[27:28]
	v_fma_f64 v[59:60], v[116:117], 2.0, -v[67:68]
	v_fma_f64 v[63:64], v[118:119], 2.0, -v[69:70]
	;; [unrolled: 1-line block ×4, first 2 shown]
	v_add_f64 v[29:30], v[65:66], v[29:30]
	v_add_f64 v[33:34], v[69:70], v[33:34]
	v_fma_f64 v[77:78], v[108:109], 2.0, -v[71:72]
	v_fma_f64 v[85:86], v[110:111], 2.0, -v[73:74]
	;; [unrolled: 1-line block ×4, first 2 shown]
	v_lshrrev_b16 v108, 13, v31
	v_add_f64 v[31:32], v[67:68], -v[35:36]
	v_add_f64 v[43:44], v[71:72], -v[43:44]
	v_add_f64 v[45:46], v[73:74], v[45:46]
	v_mov_b32_e32 v79, 0x440
	v_lshrrev_b32_e32 v109, 22, v22
	v_lshrrev_b32_e32 v110, 22, v23
	v_mov_b32_e32 v114, 0xcc0
	v_add_f64 v[35:36], v[53:54], -v[41:42]
	v_add_f64 v[37:38], v[57:58], -v[47:48]
	v_mul_u32_u24_e32 v115, 0xcc0, v109
	v_mul_lo_u16 v90, 0x44, v110
	v_mul_u32_u24_sdwa v114, v108, v114 dst_sel:DWORD dst_unused:UNUSED_PAD src0_sel:WORD_0 src1_sel:DWORD
	v_mul_u32_u24_e32 v110, 0xcc0, v110
	v_add_f64 v[39:40], v[59:60], -v[55:56]
	v_add_f64 v[41:42], v[63:64], -v[75:76]
	v_mul_u32_u24_sdwa v75, v20, v79 dst_sel:DWORD dst_unused:UNUSED_PAD src0_sel:WORD_0 src1_sel:DWORD
	v_mul_u32_u24_e32 v76, 0x440, v21
	v_mul_lo_u16 v20, 0x44, v108
	v_mul_lo_u16 v21, 0x44, v109
	v_add_f64 v[47:48], v[77:78], -v[49:50]
	v_add_f64 v[49:50], v[85:86], -v[51:52]
	v_fma_f64 v[22:23], v[65:66], 2.0, -v[29:30]
	v_sub_nc_u16 v111, v88, v20
	v_sub_nc_u16 v112, v80, v21
	v_fma_f64 v[20:21], v[61:62], 2.0, -v[27:28]
	v_fma_f64 v[51:52], v[67:68], 2.0, -v[31:32]
	;; [unrolled: 1-line block ×3, first 2 shown]
	v_mul_u32_u24_e32 v79, 0x440, v87
	v_mul_lo_u16 v87, 0x44, v81
	v_fma_f64 v[55:56], v[53:54], 2.0, -v[35:36]
	v_fma_f64 v[57:58], v[57:58], 2.0, -v[37:38]
	;; [unrolled: 1-line block ×3, first 2 shown]
	v_add3_u32 v24, 0, v75, v24
	v_sub_nc_u16 v87, v82, v87
	v_add3_u32 v25, 0, v76, v25
	v_fma_f64 v[59:60], v[59:60], 2.0, -v[39:40]
	v_fma_f64 v[61:62], v[63:64], 2.0, -v[41:42]
	;; [unrolled: 1-line block ×3, first 2 shown]
	v_lshlrev_b32_sdwa v71, v89, v111 dst_sel:DWORD dst_unused:UNUSED_PAD src0_sel:DWORD src1_sel:BYTE_0
	v_lshlrev_b32_sdwa v72, v89, v112 dst_sel:DWORD dst_unused:UNUSED_PAD src0_sel:DWORD src1_sel:WORD_0
	v_add3_u32 v26, 0, v79, v26
	v_fma_f64 v[67:68], v[77:78], 2.0, -v[47:48]
	v_fma_f64 v[69:70], v[85:86], 2.0, -v[49:50]
	v_sub_nc_u16 v113, v84, v90
	v_lshlrev_b32_sdwa v111, v83, v111 dst_sel:DWORD dst_unused:UNUSED_PAD src0_sel:DWORD src1_sel:BYTE_0
	v_lshlrev_b32_sdwa v112, v83, v112 dst_sel:DWORD dst_unused:UNUSED_PAD src0_sel:DWORD src1_sel:WORD_0
	v_mul_u32_u24_e32 v81, 0xcc0, v81
	ds_write_b128 v24, v[27:30] offset:816
	ds_write_b128 v24, v[20:23] offset:272
	ds_write_b128 v24, v[35:38] offset:544
	ds_write_b128 v24, v[55:58]
	ds_write_b128 v25, v[59:62]
	ds_write_b128 v25, v[51:54] offset:272
	ds_write_b128 v25, v[39:42] offset:544
	ds_write_b128 v25, v[31:34] offset:816
	ds_write_b128 v26, v[67:70]
	ds_write_b128 v26, v[63:66] offset:272
	ds_write_b128 v26, v[47:50] offset:544
	;; [unrolled: 1-line block ×3, first 2 shown]
	s_waitcnt lgkmcnt(0)
	s_barrier
	buffer_gl0_inv
	s_clause 0x1
	global_load_dwordx4 v[20:23], v71, s[8:9] offset:816
	global_load_dwordx4 v[24:27], v71, s[8:9] offset:832
	v_lshlrev_b32_sdwa v40, v89, v87 dst_sel:DWORD dst_unused:UNUSED_PAD src0_sel:DWORD src1_sel:WORD_0
	s_clause 0x1
	global_load_dwordx4 v[28:31], v72, s[8:9] offset:816
	global_load_dwordx4 v[32:35], v72, s[8:9] offset:832
	v_lshlrev_b32_sdwa v48, v89, v113 dst_sel:DWORD dst_unused:UNUSED_PAD src0_sel:DWORD src1_sel:WORD_0
	s_clause 0x3
	global_load_dwordx4 v[36:39], v40, s[8:9] offset:816
	global_load_dwordx4 v[40:43], v40, s[8:9] offset:832
	;; [unrolled: 1-line block ×4, first 2 shown]
	ds_read_b128 v[52:55], v91 offset:10880
	ds_read_b128 v[56:59], v91 offset:21760
	;; [unrolled: 1-line block ×8, first 2 shown]
	s_waitcnt vmcnt(7) lgkmcnt(7)
	v_mul_f64 v[85:86], v[54:55], v[22:23]
	v_mul_f64 v[22:23], v[52:53], v[22:23]
	s_waitcnt vmcnt(6) lgkmcnt(6)
	v_mul_f64 v[89:90], v[58:59], v[26:27]
	v_mul_f64 v[26:27], v[56:57], v[26:27]
	;; [unrolled: 3-line block ×6, first 2 shown]
	s_waitcnt vmcnt(1) lgkmcnt(1)
	v_mul_f64 v[104:105], v[78:79], v[46:47]
	s_waitcnt vmcnt(0) lgkmcnt(0)
	v_mul_f64 v[106:107], v[94:95], v[50:51]
	v_mul_f64 v[46:47], v[76:77], v[46:47]
	;; [unrolled: 1-line block ×3, first 2 shown]
	v_fma_f64 v[52:53], v[52:53], v[20:21], -v[85:86]
	v_fma_f64 v[54:55], v[54:55], v[20:21], v[22:23]
	v_fma_f64 v[56:57], v[56:57], v[24:25], -v[89:90]
	v_fma_f64 v[58:59], v[58:59], v[24:25], v[26:27]
	v_fma_f64 v[60:61], v[60:61], v[28:29], -v[96:97]
	v_fma_f64 v[62:63], v[62:63], v[28:29], v[30:31]
	v_fma_f64 v[64:65], v[64:65], v[32:33], -v[98:99]
	v_fma_f64 v[66:67], v[66:67], v[32:33], v[34:35]
	v_fma_f64 v[68:69], v[68:69], v[36:37], -v[100:101]
	v_fma_f64 v[36:37], v[70:71], v[36:37], v[38:39]
	v_fma_f64 v[38:39], v[72:73], v[40:41], -v[102:103]
	v_fma_f64 v[40:41], v[74:75], v[40:41], v[42:43]
	v_fma_f64 v[42:43], v[76:77], v[44:45], -v[104:105]
	v_fma_f64 v[70:71], v[92:93], v[48:49], -v[106:107]
	v_fma_f64 v[44:45], v[78:79], v[44:45], v[46:47]
	v_fma_f64 v[46:47], v[94:95], v[48:49], v[50:51]
	ds_read_b128 v[20:23], v91
	ds_read_b128 v[24:27], v91 offset:2720
	ds_read_b128 v[28:31], v91 offset:5440
	;; [unrolled: 1-line block ×3, first 2 shown]
	s_waitcnt lgkmcnt(0)
	s_barrier
	buffer_gl0_inv
	v_add_f64 v[48:49], v[52:53], v[56:57]
	v_add_f64 v[50:51], v[54:55], v[58:59]
	v_add_f64 v[89:90], v[54:55], -v[58:59]
	v_add_f64 v[72:73], v[60:61], v[64:65]
	v_add_f64 v[74:75], v[62:63], v[66:67]
	;; [unrolled: 1-line block ×8, first 2 shown]
	v_add_f64 v[52:53], v[52:53], -v[56:57]
	v_add_f64 v[106:107], v[34:35], v[44:45]
	v_add_f64 v[96:97], v[24:25], v[60:61]
	;; [unrolled: 1-line block ×3, first 2 shown]
	v_add_f64 v[62:63], v[62:63], -v[66:67]
	v_add_f64 v[60:61], v[60:61], -v[64:65]
	v_add_f64 v[100:101], v[28:29], v[68:69]
	v_fma_f64 v[20:21], v[48:49], -0.5, v[20:21]
	v_fma_f64 v[22:23], v[50:51], -0.5, v[22:23]
	v_add_f64 v[102:103], v[30:31], v[36:37]
	v_add_f64 v[68:69], v[68:69], -v[38:39]
	v_fma_f64 v[24:25], v[72:73], -0.5, v[24:25]
	v_fma_f64 v[26:27], v[74:75], -0.5, v[26:27]
	v_add_f64 v[72:73], v[36:37], -v[40:41]
	v_add_f64 v[104:105], v[32:33], v[42:43]
	v_fma_f64 v[74:75], v[76:77], -0.5, v[28:29]
	v_fma_f64 v[85:86], v[85:86], -0.5, v[30:31]
	v_add_f64 v[76:77], v[44:45], -v[46:47]
	v_add_f64 v[108:109], v[42:43], -v[70:71]
	v_fma_f64 v[92:93], v[92:93], -0.5, v[32:33]
	v_add_f64 v[28:29], v[78:79], v[56:57]
	v_fma_f64 v[78:79], v[94:95], -0.5, v[34:35]
	v_add_f64 v[30:31], v[54:55], v[58:59]
	v_add_f64 v[42:43], v[106:107], v[46:47]
	;; [unrolled: 1-line block ×5, first 2 shown]
	v_fma_f64 v[44:45], v[89:90], s[0:1], v[20:21]
	v_fma_f64 v[46:47], v[52:53], s[4:5], v[22:23]
	;; [unrolled: 1-line block ×8, first 2 shown]
	v_add_f64 v[38:39], v[102:103], v[40:41]
	v_fma_f64 v[60:61], v[72:73], s[0:1], v[74:75]
	v_fma_f64 v[62:63], v[68:69], s[4:5], v[85:86]
	;; [unrolled: 1-line block ×4, first 2 shown]
	v_add_f64 v[40:41], v[104:105], v[70:71]
	v_fma_f64 v[20:21], v[76:77], s[0:1], v[92:93]
	v_fma_f64 v[22:23], v[108:109], s[4:5], v[78:79]
	;; [unrolled: 1-line block ×4, first 2 shown]
	v_lshlrev_b32_sdwa v68, v83, v87 dst_sel:DWORD dst_unused:UNUSED_PAD src0_sel:DWORD src1_sel:WORD_0
	v_lshlrev_b32_sdwa v69, v83, v113 dst_sel:DWORD dst_unused:UNUSED_PAD src0_sel:DWORD src1_sel:WORD_0
	v_add3_u32 v70, 0, v114, v111
	v_add3_u32 v71, 0, v115, v112
	v_cmp_gt_u32_e64 s0, 34, v88
	v_add3_u32 v68, 0, v81, v68
	v_add3_u32 v69, 0, v110, v69
	ds_write_b128 v70, v[28:31]
	ds_write_b128 v70, v[44:47] offset:1088
	ds_write_b128 v70, v[48:51] offset:2176
	ds_write_b128 v71, v[32:35]
	ds_write_b128 v71, v[52:55] offset:1088
	ds_write_b128 v71, v[56:59] offset:2176
	;; [unrolled: 3-line block ×4, first 2 shown]
	s_waitcnt lgkmcnt(0)
	s_barrier
	buffer_gl0_inv
	ds_read_b128 v[40:43], v91
	ds_read_b128 v[48:51], v91 offset:3264
	ds_read_b128 v[52:55], v91 offset:6528
	;; [unrolled: 1-line block ×9, first 2 shown]
                                        ; implicit-def: $vgpr38_vgpr39
                                        ; implicit-def: $vgpr30_vgpr31
                                        ; implicit-def: $vgpr34_vgpr35
	s_and_saveexec_b32 s1, s0
	s_cbranch_execz .LBB0_15
; %bb.14:
	ds_read_b128 v[20:23], v91 offset:2720
	ds_read_b128 v[24:27], v91 offset:5984
	;; [unrolled: 1-line block ×10, first 2 shown]
.LBB0_15:
	s_or_b32 exec_lo, exec_lo, s1
	v_mul_u32_u24_e32 v81, 9, v88
	s_mov_b32 s4, 0x134454ff
	s_mov_b32 s5, 0x3fee6f0e
	;; [unrolled: 1-line block ×4, first 2 shown]
	v_lshlrev_b32_e32 v81, 4, v81
	s_mov_b32 s6, 0x4755a5e
	s_mov_b32 s7, 0x3fe2cf23
	;; [unrolled: 1-line block ×4, first 2 shown]
	v_add_co_u32 v81, s1, s8, v81
	v_add_co_ci_u32_e64 v83, null, s9, 0, s1
	s_mov_b32 s10, 0x372fe950
	v_add_co_u32 v85, s1, 0xbb0, v81
	v_add_co_ci_u32_e64 v86, s1, 0, v83, s1
	v_add_co_u32 v89, s1, 0x800, v81
	v_add_co_ci_u32_e64 v90, s1, 0, v83, s1
	;; [unrolled: 2-line block ×3, first 2 shown]
	s_clause 0x8
	global_load_dwordx4 v[92:95], v[85:86], off offset:32
	global_load_dwordx4 v[96:99], v[89:90], off offset:1008
	;; [unrolled: 1-line block ×9, first 2 shown]
	s_mov_b32 s11, 0x3fd3c6ef
	s_mov_b32 s16, 0x9b97f4a8
	;; [unrolled: 1-line block ×3, first 2 shown]
	s_waitcnt vmcnt(0) lgkmcnt(0)
	s_barrier
	buffer_gl0_inv
	v_mul_f64 v[85:86], v[66:67], v[94:95]
	v_mul_f64 v[89:90], v[64:65], v[94:95]
	;; [unrolled: 1-line block ×17, first 2 shown]
	v_fma_f64 v[64:65], v[64:65], v[92:93], -v[85:86]
	v_fma_f64 v[66:67], v[66:67], v[92:93], v[89:90]
	v_fma_f64 v[68:69], v[68:69], v[96:97], -v[94:95]
	v_fma_f64 v[70:71], v[70:71], v[96:97], v[98:99]
	;; [unrolled: 2-line block ×3, first 2 shown]
	v_fma_f64 v[78:79], v[78:79], v[104:105], v[130:131]
	v_fma_f64 v[76:77], v[76:77], v[104:105], -v[106:107]
	v_mul_f64 v[85:86], v[46:47], v[126:127]
	v_fma_f64 v[48:49], v[48:49], v[108:109], -v[132:133]
	v_fma_f64 v[50:51], v[50:51], v[108:109], v[110:111]
	v_fma_f64 v[52:53], v[52:53], v[112:113], -v[134:135]
	v_fma_f64 v[54:55], v[54:55], v[112:113], v[114:115]
	;; [unrolled: 2-line block ×4, first 2 shown]
	v_fma_f64 v[46:47], v[46:47], v[124:125], v[140:141]
	v_add_f64 v[130:131], v[64:65], -v[68:69]
	v_add_f64 v[134:135], v[68:69], -v[64:65]
	v_add_f64 v[89:90], v[68:69], v[72:73]
	v_add_f64 v[92:93], v[70:71], v[74:75]
	;; [unrolled: 1-line block ×4, first 2 shown]
	v_fma_f64 v[44:45], v[44:45], v[124:125], -v[85:86]
	v_add_f64 v[104:105], v[66:67], -v[78:79]
	v_add_f64 v[106:107], v[70:71], -v[74:75]
	;; [unrolled: 1-line block ×6, first 2 shown]
	v_add_f64 v[98:99], v[56:57], v[60:61]
	v_add_f64 v[124:125], v[58:59], v[62:63]
	;; [unrolled: 1-line block ×3, first 2 shown]
	v_add_f64 v[138:139], v[66:67], -v[70:71]
	v_add_f64 v[140:141], v[78:79], -v[74:75]
	;; [unrolled: 1-line block ×4, first 2 shown]
	v_add_f64 v[85:86], v[40:41], v[52:53]
	v_add_f64 v[122:123], v[42:43], v[54:55]
	v_add_f64 v[100:101], v[54:55], -v[46:47]
	v_add_f64 v[102:103], v[58:59], -v[62:63]
	v_fma_f64 v[89:90], v[89:90], -0.5, v[48:49]
	v_fma_f64 v[92:93], v[92:93], -0.5, v[50:51]
	;; [unrolled: 1-line block ×4, first 2 shown]
	v_add_f64 v[116:117], v[52:53], v[44:45]
	v_add_f64 v[48:49], v[48:49], v[64:65]
	;; [unrolled: 1-line block ×3, first 2 shown]
	v_add_f64 v[112:113], v[52:53], -v[56:57]
	v_add_f64 v[114:115], v[44:45], -v[60:61]
	;; [unrolled: 1-line block ×5, first 2 shown]
	v_fma_f64 v[64:65], v[98:99], -0.5, v[40:41]
	v_fma_f64 v[66:67], v[124:125], -0.5, v[42:43]
	;; [unrolled: 1-line block ×3, first 2 shown]
	v_add_f64 v[98:99], v[130:131], v[132:133]
	v_add_f64 v[124:125], v[138:139], v[140:141]
	;; [unrolled: 1-line block ×3, first 2 shown]
	v_add_f64 v[120:121], v[60:61], -v[44:45]
	v_add_f64 v[154:155], v[54:55], -v[58:59]
	v_add_f64 v[54:55], v[58:59], -v[54:55]
	v_add_f64 v[56:57], v[85:86], v[56:57]
	v_fma_f64 v[152:153], v[104:105], s[12:13], v[89:90]
	v_fma_f64 v[146:147], v[108:109], s[12:13], v[92:93]
	;; [unrolled: 1-line block ×8, first 2 shown]
	v_fma_f64 v[40:41], v[116:117], -0.5, v[40:41]
	v_add_f64 v[116:117], v[134:135], v[136:137]
	v_add_f64 v[58:59], v[122:123], v[58:59]
	;; [unrolled: 1-line block ×4, first 2 shown]
	v_add_f64 v[156:157], v[46:47], -v[62:63]
	v_add_f64 v[158:159], v[62:63], -v[46:47]
	v_add_f64 v[85:86], v[112:113], v[114:115]
	v_fma_f64 v[68:69], v[100:101], s[4:5], v[64:65]
	v_fma_f64 v[64:65], v[100:101], s[12:13], v[64:65]
	v_add_f64 v[56:57], v[56:57], v[60:61]
	v_fma_f64 v[136:137], v[106:107], s[14:15], v[152:153]
	v_fma_f64 v[130:131], v[110:111], s[14:15], v[146:147]
	;; [unrolled: 1-line block ×14, first 2 shown]
	v_add_f64 v[104:105], v[118:119], v[120:121]
	v_add_f64 v[58:59], v[58:59], v[62:63]
	;; [unrolled: 1-line block ×5, first 2 shown]
	v_fma_f64 v[60:61], v[102:103], s[6:7], v[68:69]
	v_fma_f64 v[62:63], v[102:103], s[14:15], v[64:65]
	v_add_f64 v[56:57], v[56:57], v[44:45]
	v_fma_f64 v[118:119], v[98:99], s[10:11], v[136:137]
	v_fma_f64 v[110:111], v[124:125], s[10:11], v[130:131]
	v_fma_f64 v[112:113], v[128:129], s[10:11], v[132:133]
	v_fma_f64 v[114:115], v[116:117], s[10:11], v[134:135]
	v_fma_f64 v[89:90], v[98:99], s[10:11], v[89:90]
	v_fma_f64 v[96:97], v[116:117], s[10:11], v[96:97]
	v_fma_f64 v[94:95], v[128:129], s[10:11], v[94:95]
	v_fma_f64 v[92:93], v[124:125], s[10:11], v[92:93]
	v_add_f64 v[98:99], v[154:155], v[156:157]
	v_fma_f64 v[64:65], v[100:101], s[6:7], v[70:71]
	v_fma_f64 v[40:41], v[100:101], s[14:15], v[40:41]
	;; [unrolled: 1-line block ×6, first 2 shown]
	v_add_f64 v[58:59], v[58:59], v[46:47]
	v_add_f64 v[46:47], v[48:49], v[76:77]
	;; [unrolled: 1-line block ×3, first 2 shown]
	v_fma_f64 v[76:77], v[85:86], s[10:11], v[60:61]
	v_fma_f64 v[78:79], v[85:86], s[10:11], v[62:63]
	v_mul_f64 v[100:101], v[118:119], s[16:17]
	v_mul_f64 v[52:53], v[110:111], s[6:7]
	;; [unrolled: 1-line block ×8, first 2 shown]
	v_fma_f64 v[85:86], v[104:105], s[10:11], v[64:65]
	v_fma_f64 v[40:41], v[104:105], s[10:11], v[40:41]
	;; [unrolled: 1-line block ×6, first 2 shown]
	v_add_f64 v[42:43], v[56:57], v[46:47]
	v_add_f64 v[44:45], v[58:59], v[48:49]
	v_add_f64 v[46:47], v[56:57], -v[46:47]
	v_add_f64 v[48:49], v[58:59], -v[48:49]
	v_fma_f64 v[66:67], v[89:90], s[16:17], v[52:53]
	v_fma_f64 v[70:71], v[96:97], s[10:11], v[72:73]
	v_fma_f64 v[72:73], v[94:95], s[4:5], -v[74:75]
	v_fma_f64 v[94:95], v[110:111], s[16:17], v[102:103]
	v_fma_f64 v[96:97], v[112:113], s[10:11], v[106:107]
	v_fma_f64 v[89:90], v[92:93], s[6:7], -v[100:101]
	v_fma_f64 v[100:101], v[114:115], s[12:13], -v[108:109]
	;; [unrolled: 1-line block ×3, first 2 shown]
	v_add_f64 v[50:51], v[76:77], v[66:67]
	v_add_f64 v[54:55], v[85:86], v[70:71]
	;; [unrolled: 1-line block ×8, first 2 shown]
	v_add_f64 v[66:67], v[76:77], -v[66:67]
	v_add_f64 v[68:69], v[68:69], -v[94:95]
	;; [unrolled: 1-line block ×8, first 2 shown]
	v_mov_b32_e32 v41, 0
	ds_write_b128 v91, v[42:45]
	ds_write_b128 v91, v[46:49] offset:16320
	ds_write_b128 v91, v[50:53] offset:3264
	;; [unrolled: 1-line block ×9, first 2 shown]
	s_and_saveexec_b32 s1, s0
	s_cbranch_execz .LBB0_17
; %bb.16:
	v_subrev_nc_u32_e32 v40, 34, v88
	v_cndmask_b32_e64 v40, v40, v80, s0
	v_mul_i32_i24_e32 v40, 9, v40
	v_lshlrev_b64 v[40:41], 4, v[40:41]
	v_add_co_u32 v40, s0, s8, v40
	v_add_co_ci_u32_e64 v41, s0, s9, v41, s0
	v_add_co_u32 v60, s0, 0xbb0, v40
	v_add_co_ci_u32_e64 v61, s0, 0, v41, s0
	;; [unrolled: 2-line block ×4, first 2 shown]
	s_clause 0x8
	global_load_dwordx4 v[40:43], v[60:61], off offset:32
	global_load_dwordx4 v[44:47], v[72:73], off offset:1008
	;; [unrolled: 1-line block ×9, first 2 shown]
	s_waitcnt vmcnt(8)
	v_mul_f64 v[76:77], v[18:19], v[42:43]
	s_waitcnt vmcnt(7)
	v_mul_f64 v[78:79], v[10:11], v[46:47]
	v_mul_f64 v[42:43], v[16:17], v[42:43]
	;; [unrolled: 1-line block ×3, first 2 shown]
	s_waitcnt vmcnt(6)
	v_mul_f64 v[85:86], v[32:33], v[50:51]
	s_waitcnt vmcnt(5)
	v_mul_f64 v[89:90], v[36:37], v[54:55]
	v_mul_f64 v[50:51], v[34:35], v[50:51]
	;; [unrolled: 1-line block ×3, first 2 shown]
	s_waitcnt vmcnt(0)
	v_mul_f64 v[100:101], v[26:27], v[74:75]
	v_mul_f64 v[74:75], v[24:25], v[74:75]
	;; [unrolled: 1-line block ×6, first 2 shown]
	v_fma_f64 v[16:17], v[16:17], v[40:41], -v[76:77]
	v_fma_f64 v[8:9], v[8:9], v[44:45], -v[78:79]
	v_fma_f64 v[18:19], v[18:19], v[40:41], v[42:43]
	v_fma_f64 v[10:11], v[10:11], v[44:45], v[46:47]
	;; [unrolled: 1-line block ×4, first 2 shown]
	v_fma_f64 v[32:33], v[32:33], v[48:49], -v[50:51]
	v_fma_f64 v[36:37], v[36:37], v[52:53], -v[54:55]
	v_mul_f64 v[40:41], v[6:7], v[62:63]
	v_mul_f64 v[42:43], v[2:3], v[70:71]
	;; [unrolled: 1-line block ×4, first 2 shown]
	v_fma_f64 v[24:25], v[24:25], v[72:73], -v[100:101]
	v_fma_f64 v[26:27], v[26:27], v[72:73], v[74:75]
	v_fma_f64 v[14:15], v[14:15], v[56:57], v[92:93]
	;; [unrolled: 1-line block ×5, first 2 shown]
	v_add_f64 v[66:67], v[16:17], -v[8:9]
	v_add_f64 v[85:86], v[8:9], -v[16:17]
	;; [unrolled: 1-line block ×3, first 2 shown]
	v_add_f64 v[48:49], v[10:11], v[34:35]
	v_add_f64 v[50:51], v[18:19], v[38:39]
	v_add_f64 v[54:55], v[8:9], v[32:33]
	v_add_f64 v[52:53], v[16:17], v[36:37]
	v_fma_f64 v[4:5], v[4:5], v[60:61], -v[40:41]
	v_fma_f64 v[0:1], v[0:1], v[68:69], -v[42:43]
	;; [unrolled: 1-line block ×4, first 2 shown]
	v_add_f64 v[40:41], v[18:19], -v[38:39]
	v_add_f64 v[44:45], v[8:9], -v[32:33]
	;; [unrolled: 1-line block ×5, first 2 shown]
	v_add_f64 v[64:65], v[6:7], v[2:3]
	v_add_f64 v[72:73], v[38:39], -v[34:35]
	v_add_f64 v[78:79], v[14:15], v[30:31]
	v_add_f64 v[89:90], v[32:33], -v[36:37]
	v_add_f64 v[92:93], v[10:11], -v[18:19]
	;; [unrolled: 1-line block ×3, first 2 shown]
	v_add_f64 v[18:19], v[26:27], v[18:19]
	v_add_f64 v[96:97], v[22:23], v[14:15]
	;; [unrolled: 1-line block ×3, first 2 shown]
	v_fma_f64 v[48:49], v[48:49], -0.5, v[26:27]
	v_fma_f64 v[50:51], v[50:51], -0.5, v[26:27]
	;; [unrolled: 1-line block ×4, first 2 shown]
	v_add_f64 v[56:57], v[14:15], -v[6:7]
	v_add_f64 v[104:105], v[4:5], v[0:1]
	v_add_f64 v[114:115], v[20:21], v[12:13]
	;; [unrolled: 1-line block ×3, first 2 shown]
	v_add_f64 v[58:59], v[30:31], -v[2:3]
	v_add_f64 v[60:61], v[4:5], -v[0:1]
	;; [unrolled: 1-line block ×7, first 2 shown]
	v_fma_f64 v[24:25], v[64:65], -0.5, v[22:23]
	v_add_f64 v[64:65], v[66:67], v[68:69]
	v_add_f64 v[66:67], v[70:71], v[72:73]
	v_fma_f64 v[22:23], v[78:79], -0.5, v[22:23]
	v_add_f64 v[68:69], v[85:86], v[89:90]
	v_add_f64 v[70:71], v[92:93], v[94:95]
	v_add_f64 v[108:109], v[12:13], -v[4:5]
	v_fma_f64 v[26:27], v[46:47], s[4:5], v[48:49]
	v_fma_f64 v[98:99], v[44:45], s[12:13], v[50:51]
	;; [unrolled: 1-line block ×8, first 2 shown]
	v_fma_f64 v[89:90], v[104:105], -0.5, v[20:21]
	v_fma_f64 v[20:21], v[106:107], -0.5, v[20:21]
	v_add_f64 v[12:13], v[4:5], -v[12:13]
	v_add_f64 v[6:7], v[96:97], v[6:7]
	v_add_f64 v[10:11], v[18:19], v[10:11]
	;; [unrolled: 1-line block ×4, first 2 shown]
	v_add_f64 v[110:111], v[28:29], -v[0:1]
	v_fma_f64 v[16:17], v[62:63], s[4:5], v[24:25]
	v_fma_f64 v[24:25], v[62:63], s[12:13], v[24:25]
	;; [unrolled: 1-line block ×4, first 2 shown]
	v_add_f64 v[92:93], v[0:1], -v[28:29]
	v_fma_f64 v[26:27], v[44:45], s[6:7], v[26:27]
	v_fma_f64 v[72:73], v[46:47], s[6:7], v[98:99]
	;; [unrolled: 1-line block ×8, first 2 shown]
	v_add_f64 v[48:49], v[56:57], v[58:59]
	v_add_f64 v[50:51], v[74:75], v[76:77]
	v_fma_f64 v[74:75], v[14:15], s[4:5], v[89:90]
	v_fma_f64 v[58:59], v[14:15], s[12:13], v[89:90]
	v_add_f64 v[2:3], v[6:7], v[2:3]
	v_add_f64 v[6:7], v[10:11], v[34:35]
	;; [unrolled: 1-line block ×4, first 2 shown]
	v_fma_f64 v[8:9], v[60:61], s[6:7], v[16:17]
	v_fma_f64 v[10:11], v[62:63], s[6:7], v[18:19]
	;; [unrolled: 1-line block ×4, first 2 shown]
	v_add_f64 v[12:13], v[12:13], v[92:93]
	v_fma_f64 v[26:27], v[66:67], s[10:11], v[26:27]
	v_fma_f64 v[52:53], v[70:71], s[10:11], v[72:73]
	;; [unrolled: 1-line block ×10, first 2 shown]
	v_add_f64 v[64:65], v[108:109], v[110:111]
	v_fma_f64 v[58:59], v[112:113], s[14:15], v[58:59]
	v_add_f64 v[30:31], v[2:3], v[30:31]
	v_add_f64 v[6:7], v[6:7], v[38:39]
	;; [unrolled: 1-line block ×4, first 2 shown]
	v_fma_f64 v[8:9], v[48:49], s[10:11], v[8:9]
	v_fma_f64 v[36:37], v[50:51], s[10:11], v[10:11]
	;; [unrolled: 1-line block ×4, first 2 shown]
	v_mul_f64 v[22:23], v[26:27], s[16:17]
	v_mul_f64 v[24:25], v[52:53], s[10:11]
	;; [unrolled: 1-line block ×3, first 2 shown]
	v_fma_f64 v[60:61], v[14:15], s[14:15], v[72:73]
	v_fma_f64 v[14:15], v[14:15], s[6:7], v[20:21]
	;; [unrolled: 1-line block ×3, first 2 shown]
	v_mul_f64 v[62:63], v[44:45], s[6:7]
	v_mul_f64 v[32:33], v[54:55], s[12:13]
	;; [unrolled: 1-line block ×5, first 2 shown]
	v_add_f64 v[2:3], v[30:31], -v[6:7]
	v_add_f64 v[6:7], v[30:31], v[6:7]
	v_add_f64 v[0:1], v[28:29], -v[4:5]
	v_add_f64 v[4:5], v[28:29], v[4:5]
	v_fma_f64 v[42:43], v[42:43], s[14:15], -v[22:23]
	v_fma_f64 v[24:25], v[40:41], s[12:13], -v[24:25]
	v_fma_f64 v[40:41], v[44:45], s[16:17], v[34:35]
	v_fma_f64 v[44:45], v[64:65], s[10:11], v[58:59]
	;; [unrolled: 1-line block ×8, first 2 shown]
	v_fma_f64 v[52:53], v[52:53], s[4:5], -v[68:69]
	v_fma_f64 v[54:55], v[26:27], s[6:7], -v[70:71]
	v_add_f64 v[26:27], v[8:9], v[42:43]
	v_add_f64 v[14:15], v[36:37], -v[24:25]
	v_add_f64 v[22:23], v[38:39], -v[40:41]
	v_add_f64 v[30:31], v[36:37], v[24:25]
	v_add_f64 v[38:39], v[38:39], v[40:41]
	v_add_f64 v[10:11], v[8:9], -v[42:43]
	v_add_f64 v[36:37], v[20:21], v[48:49]
	v_add_f64 v[18:19], v[16:17], -v[32:33]
	;; [unrolled: 2-line block ×3, first 2 shown]
	v_add_f64 v[32:33], v[12:13], v[50:51]
	v_add_f64 v[28:29], v[46:47], v[52:53]
	;; [unrolled: 1-line block ×3, first 2 shown]
	v_add_f64 v[16:17], v[12:13], -v[50:51]
	v_add_f64 v[12:13], v[46:47], -v[52:53]
	;; [unrolled: 1-line block ×3, first 2 shown]
	ds_write_b128 v91, v[4:7] offset:2720
	ds_write_b128 v91, v[0:3] offset:19040
	ds_write_b128 v91, v[36:39] offset:5984
	ds_write_b128 v91, v[32:35] offset:9248
	ds_write_b128 v91, v[28:31] offset:12512
	ds_write_b128 v91, v[24:27] offset:15776
	ds_write_b128 v91, v[20:23] offset:22304
	ds_write_b128 v91, v[16:19] offset:25568
	ds_write_b128 v91, v[12:15] offset:28832
	ds_write_b128 v91, v[8:11] offset:32096
.LBB0_17:
	s_or_b32 exec_lo, exec_lo, s1
	s_waitcnt lgkmcnt(0)
	s_barrier
	buffer_gl0_inv
	ds_read_b128 v[4:7], v91
	v_lshlrev_b32_e32 v0, 4, v88
	s_add_u32 s1, s8, 0x7e70
	s_addc_u32 s4, s9, 0
	s_mov_b32 s5, exec_lo
                                        ; implicit-def: $vgpr8_vgpr9
                                        ; implicit-def: $vgpr10_vgpr11
	v_sub_nc_u32_e32 v12, 0, v0
                                        ; implicit-def: $vgpr0_vgpr1
	v_cmpx_ne_u32_e32 0, v88
	s_xor_b32 s5, exec_lo, s5
	s_cbranch_execz .LBB0_19
; %bb.18:
	v_mov_b32_e32 v89, 0
	v_lshlrev_b64 v[0:1], 4, v[88:89]
	v_add_co_u32 v0, s0, s1, v0
	v_add_co_ci_u32_e64 v1, s0, s4, v1, s0
	global_load_dwordx4 v[13:16], v[0:1], off
	ds_read_b128 v[0:3], v12 offset:32640
	s_waitcnt lgkmcnt(0)
	v_add_f64 v[8:9], v[4:5], -v[0:1]
	v_add_f64 v[10:11], v[6:7], v[2:3]
	v_add_f64 v[2:3], v[6:7], -v[2:3]
	v_add_f64 v[0:1], v[4:5], v[0:1]
	v_mul_f64 v[6:7], v[8:9], 0.5
	v_mul_f64 v[4:5], v[10:11], 0.5
	;; [unrolled: 1-line block ×3, first 2 shown]
	s_waitcnt vmcnt(0)
	v_mul_f64 v[8:9], v[6:7], v[15:16]
	v_fma_f64 v[10:11], v[4:5], v[15:16], v[2:3]
	v_fma_f64 v[2:3], v[4:5], v[15:16], -v[2:3]
	v_fma_f64 v[17:18], v[0:1], 0.5, v[8:9]
	v_fma_f64 v[0:1], v[0:1], 0.5, -v[8:9]
	v_fma_f64 v[10:11], -v[13:14], v[6:7], v[10:11]
	v_fma_f64 v[2:3], -v[13:14], v[6:7], v[2:3]
	v_fma_f64 v[8:9], v[4:5], v[13:14], v[17:18]
	v_fma_f64 v[0:1], -v[4:5], v[13:14], v[0:1]
                                        ; implicit-def: $vgpr4_vgpr5
.LBB0_19:
	s_andn2_saveexec_b32 s0, s5
	s_cbranch_execz .LBB0_21
; %bb.20:
	v_mov_b32_e32 v15, 0
	s_waitcnt lgkmcnt(0)
	v_add_f64 v[8:9], v[4:5], v[6:7]
	v_add_f64 v[0:1], v[4:5], -v[6:7]
	v_mov_b32_e32 v10, 0
	v_mov_b32_e32 v11, 0
	ds_read_b64 v[13:14], v15 offset:16328
	v_mov_b32_e32 v2, v10
	v_mov_b32_e32 v3, v11
	s_waitcnt lgkmcnt(0)
	v_xor_b32_e32 v14, 0x80000000, v14
	ds_write_b64 v15, v[13:14] offset:16328
.LBB0_21:
	s_or_b32 exec_lo, exec_lo, s0
	v_mov_b32_e32 v81, 0
	ds_write2_b64 v91, v[8:9], v[10:11] offset1:1
	ds_write_b128 v12, v[0:3] offset:32640
	s_waitcnt lgkmcnt(2)
	v_lshlrev_b64 v[4:5], 4, v[80:81]
	v_mov_b32_e32 v83, v81
	v_mov_b32_e32 v85, v81
	v_add_nc_u32_e32 v80, 0x2a8, v88
	v_lshlrev_b64 v[13:14], 4, v[82:83]
	v_add_co_u32 v4, s0, s1, v4
	v_add_co_ci_u32_e64 v5, s0, s4, v5, s0
	v_lshlrev_b64 v[17:18], 4, v[84:85]
	v_add_co_u32 v13, s0, s1, v13
	global_load_dwordx4 v[4:7], v[4:5], off
	v_add_co_ci_u32_e64 v14, s0, s4, v14, s0
	v_add_co_u32 v17, s0, s1, v17
	v_add_co_ci_u32_e64 v18, s0, s4, v18, s0
	global_load_dwordx4 v[13:16], v[13:14], off
	ds_read_b128 v[0:3], v91 offset:2720
	ds_read_b128 v[8:11], v12 offset:29920
	global_load_dwordx4 v[17:20], v[17:18], off
	s_waitcnt lgkmcnt(0)
	v_add_f64 v[21:22], v[0:1], -v[8:9]
	v_add_f64 v[23:24], v[2:3], v[10:11]
	v_add_f64 v[2:3], v[2:3], -v[10:11]
	v_add_f64 v[0:1], v[0:1], v[8:9]
	v_mul_f64 v[10:11], v[21:22], 0.5
	v_mul_f64 v[21:22], v[23:24], 0.5
	;; [unrolled: 1-line block ×3, first 2 shown]
	s_waitcnt vmcnt(2)
	v_mul_f64 v[8:9], v[10:11], v[6:7]
	v_fma_f64 v[23:24], v[21:22], v[6:7], v[2:3]
	v_fma_f64 v[2:3], v[21:22], v[6:7], -v[2:3]
	v_fma_f64 v[6:7], v[0:1], 0.5, v[8:9]
	v_fma_f64 v[0:1], v[0:1], 0.5, -v[8:9]
	v_fma_f64 v[8:9], -v[4:5], v[10:11], v[23:24]
	v_fma_f64 v[2:3], -v[4:5], v[10:11], v[2:3]
	v_lshlrev_b64 v[10:11], 4, v[80:81]
	v_add_nc_u32_e32 v80, 0x352, v88
	v_fma_f64 v[6:7], v[21:22], v[4:5], v[6:7]
	v_fma_f64 v[0:1], -v[21:22], v[4:5], v[0:1]
	v_add_nc_u32_e32 v4, 0x800, v91
	ds_write2_b64 v4, v[6:7], v[8:9] offset0:84 offset1:85
	ds_write_b128 v12, v[0:3] offset:29920
	v_add_co_u32 v8, s0, s1, v10
	ds_read_b128 v[0:3], v91 offset:5440
	ds_read_b128 v[4:7], v12 offset:27200
	v_add_co_ci_u32_e64 v9, s0, s4, v11, s0
	global_load_dwordx4 v[8:11], v[8:9], off
	s_waitcnt lgkmcnt(0)
	v_add_f64 v[21:22], v[0:1], -v[4:5]
	v_add_f64 v[23:24], v[2:3], v[6:7]
	v_add_f64 v[2:3], v[2:3], -v[6:7]
	v_add_f64 v[0:1], v[0:1], v[4:5]
	v_mul_f64 v[6:7], v[21:22], 0.5
	v_mul_f64 v[21:22], v[23:24], 0.5
	;; [unrolled: 1-line block ×3, first 2 shown]
	s_waitcnt vmcnt(2)
	v_mul_f64 v[4:5], v[6:7], v[15:16]
	v_fma_f64 v[23:24], v[21:22], v[15:16], v[2:3]
	v_fma_f64 v[2:3], v[21:22], v[15:16], -v[2:3]
	v_fma_f64 v[15:16], v[0:1], 0.5, v[4:5]
	v_fma_f64 v[0:1], v[0:1], 0.5, -v[4:5]
	v_fma_f64 v[4:5], -v[13:14], v[6:7], v[23:24]
	v_fma_f64 v[2:3], -v[13:14], v[6:7], v[2:3]
	v_fma_f64 v[6:7], v[21:22], v[13:14], v[15:16]
	v_fma_f64 v[0:1], -v[21:22], v[13:14], v[0:1]
	v_lshlrev_b64 v[13:14], 4, v[80:81]
	v_add_nc_u32_e32 v15, 0x1000, v91
	ds_write2_b64 v15, v[6:7], v[4:5] offset0:168 offset1:169
	ds_write_b128 v12, v[0:3] offset:27200
	v_add_co_u32 v13, s0, s1, v13
	ds_read_b128 v[0:3], v91 offset:8160
	ds_read_b128 v[4:7], v12 offset:24480
	v_add_co_ci_u32_e64 v14, s0, s4, v14, s0
	global_load_dwordx4 v[13:16], v[13:14], off
	s_waitcnt lgkmcnt(0)
	v_add_f64 v[21:22], v[0:1], -v[4:5]
	v_add_f64 v[23:24], v[2:3], v[6:7]
	v_add_f64 v[2:3], v[2:3], -v[6:7]
	v_add_f64 v[0:1], v[0:1], v[4:5]
	v_mul_f64 v[6:7], v[21:22], 0.5
	v_mul_f64 v[21:22], v[23:24], 0.5
	;; [unrolled: 1-line block ×3, first 2 shown]
	s_waitcnt vmcnt(2)
	v_mul_f64 v[4:5], v[6:7], v[19:20]
	v_fma_f64 v[23:24], v[21:22], v[19:20], v[2:3]
	v_fma_f64 v[2:3], v[21:22], v[19:20], -v[2:3]
	v_fma_f64 v[19:20], v[0:1], 0.5, v[4:5]
	v_fma_f64 v[0:1], v[0:1], 0.5, -v[4:5]
	v_fma_f64 v[4:5], -v[17:18], v[6:7], v[23:24]
	v_fma_f64 v[2:3], -v[17:18], v[6:7], v[2:3]
	v_fma_f64 v[6:7], v[21:22], v[17:18], v[19:20]
	v_fma_f64 v[0:1], -v[21:22], v[17:18], v[0:1]
	v_add_nc_u32_e32 v17, 0x1800, v91
	ds_write2_b64 v17, v[6:7], v[4:5] offset0:252 offset1:253
	ds_write_b128 v12, v[0:3] offset:24480
	ds_read_b128 v[0:3], v91 offset:10880
	ds_read_b128 v[4:7], v12 offset:21760
	s_waitcnt lgkmcnt(0)
	v_add_f64 v[17:18], v[0:1], -v[4:5]
	v_add_f64 v[19:20], v[2:3], v[6:7]
	v_add_f64 v[2:3], v[2:3], -v[6:7]
	v_add_f64 v[0:1], v[0:1], v[4:5]
	v_mul_f64 v[6:7], v[17:18], 0.5
	v_mul_f64 v[17:18], v[19:20], 0.5
	;; [unrolled: 1-line block ×3, first 2 shown]
	s_waitcnt vmcnt(1)
	v_mul_f64 v[4:5], v[6:7], v[10:11]
	v_fma_f64 v[19:20], v[17:18], v[10:11], v[2:3]
	v_fma_f64 v[2:3], v[17:18], v[10:11], -v[2:3]
	v_fma_f64 v[10:11], v[0:1], 0.5, v[4:5]
	v_fma_f64 v[0:1], v[0:1], 0.5, -v[4:5]
	v_fma_f64 v[4:5], -v[8:9], v[6:7], v[19:20]
	v_fma_f64 v[2:3], -v[8:9], v[6:7], v[2:3]
	v_fma_f64 v[6:7], v[17:18], v[8:9], v[10:11]
	v_fma_f64 v[0:1], -v[17:18], v[8:9], v[0:1]
	v_add_nc_u32_e32 v8, 0x2800, v91
	ds_write2_b64 v8, v[6:7], v[4:5] offset0:80 offset1:81
	ds_write_b128 v12, v[0:3] offset:21760
	ds_read_b128 v[0:3], v91 offset:13600
	ds_read_b128 v[4:7], v12 offset:19040
	s_waitcnt lgkmcnt(0)
	v_add_f64 v[8:9], v[0:1], -v[4:5]
	v_add_f64 v[10:11], v[2:3], v[6:7]
	v_add_f64 v[2:3], v[2:3], -v[6:7]
	v_add_f64 v[0:1], v[0:1], v[4:5]
	v_mul_f64 v[6:7], v[8:9], 0.5
	v_mul_f64 v[8:9], v[10:11], 0.5
	;; [unrolled: 1-line block ×3, first 2 shown]
	s_waitcnt vmcnt(0)
	v_mul_f64 v[4:5], v[6:7], v[15:16]
	v_fma_f64 v[10:11], v[8:9], v[15:16], v[2:3]
	v_fma_f64 v[2:3], v[8:9], v[15:16], -v[2:3]
	v_fma_f64 v[15:16], v[0:1], 0.5, v[4:5]
	v_fma_f64 v[0:1], v[0:1], 0.5, -v[4:5]
	v_fma_f64 v[4:5], -v[13:14], v[6:7], v[10:11]
	v_fma_f64 v[2:3], -v[13:14], v[6:7], v[2:3]
	v_fma_f64 v[6:7], v[8:9], v[13:14], v[15:16]
	v_fma_f64 v[0:1], -v[8:9], v[13:14], v[0:1]
	v_add_nc_u32_e32 v8, 0x3000, v91
	ds_write2_b64 v8, v[6:7], v[4:5] offset0:164 offset1:165
	ds_write_b128 v12, v[0:3] offset:19040
	s_waitcnt lgkmcnt(0)
	s_barrier
	buffer_gl0_inv
	s_and_saveexec_b32 s0, vcc_lo
	s_cbranch_execz .LBB0_24
; %bb.22:
	ds_read_b128 v[2:5], v91
	ds_read_b128 v[6:9], v91 offset:2720
	ds_read_b128 v[10:13], v91 offset:5440
	s_clause 0x1
	buffer_load_dword v0, off, s[56:59], 0
	buffer_load_dword v1, off, s[56:59], 0 offset:4
	v_mov_b32_e32 v89, v81
	v_lshlrev_b64 v[14:15], 4, v[88:89]
	s_waitcnt vmcnt(1)
	v_add_co_u32 v0, vcc_lo, s2, v0
	s_waitcnt vmcnt(0)
	v_add_co_ci_u32_e32 v1, vcc_lo, s3, v1, vcc_lo
	v_add_co_u32 v22, vcc_lo, v0, v14
	v_add_co_ci_u32_e32 v23, vcc_lo, v1, v15, vcc_lo
	v_add_co_u32 v14, vcc_lo, 0x800, v22
	;; [unrolled: 2-line block ×3, first 2 shown]
	v_add_co_ci_u32_e32 v17, vcc_lo, 0, v23, vcc_lo
	s_waitcnt lgkmcnt(2)
	global_store_dwordx4 v[22:23], v[2:5], off
	s_waitcnt lgkmcnt(1)
	global_store_dwordx4 v[14:15], v[6:9], off offset:672
	ds_read_b128 v[2:5], v91 offset:8160
	v_add_co_u32 v24, vcc_lo, 0x1800, v22
	s_waitcnt lgkmcnt(1)
	global_store_dwordx4 v[16:17], v[10:13], off offset:1344
	ds_read_b128 v[6:9], v91 offset:10880
	ds_read_b128 v[10:13], v91 offset:13600
	;; [unrolled: 1-line block ×4, first 2 shown]
	v_add_co_ci_u32_e32 v25, vcc_lo, 0, v23, vcc_lo
	v_add_co_u32 v26, vcc_lo, 0x2800, v22
	v_add_co_ci_u32_e32 v27, vcc_lo, 0, v23, vcc_lo
	v_add_co_u32 v28, vcc_lo, 0x3000, v22
	;; [unrolled: 2-line block ×4, first 2 shown]
	v_add_co_ci_u32_e32 v33, vcc_lo, 0, v23, vcc_lo
	s_waitcnt lgkmcnt(4)
	global_store_dwordx4 v[24:25], v[2:5], off offset:2016
	s_waitcnt lgkmcnt(3)
	global_store_dwordx4 v[26:27], v[6:9], off offset:640
	;; [unrolled: 2-line block ×5, first 2 shown]
	ds_read_b128 v[2:5], v91 offset:21760
	ds_read_b128 v[6:9], v91 offset:24480
	;; [unrolled: 1-line block ×4, first 2 shown]
	v_add_co_u32 v18, vcc_lo, 0x5000, v22
	v_add_co_ci_u32_e32 v19, vcc_lo, 0, v23, vcc_lo
	v_add_co_u32 v20, vcc_lo, 0x5800, v22
	v_add_co_ci_u32_e32 v21, vcc_lo, 0, v23, vcc_lo
	;; [unrolled: 2-line block ×4, first 2 shown]
	v_cmp_eq_u32_e32 vcc_lo, 0xa9, v88
	s_waitcnt lgkmcnt(3)
	global_store_dwordx4 v[18:19], v[2:5], off offset:1280
	s_waitcnt lgkmcnt(2)
	global_store_dwordx4 v[20:21], v[6:9], off offset:1952
	;; [unrolled: 2-line block ×4, first 2 shown]
	s_and_b32 exec_lo, exec_lo, vcc_lo
	s_cbranch_execz .LBB0_24
; %bb.23:
	v_mov_b32_e32 v2, 0
	v_add_co_u32 v0, vcc_lo, 0x7800, v0
	v_add_co_ci_u32_e32 v1, vcc_lo, 0, v1, vcc_lo
	ds_read_b128 v[2:5], v2 offset:32640
	s_waitcnt lgkmcnt(0)
	global_store_dwordx4 v[0:1], v[2:5], off offset:1920
.LBB0_24:
	s_endpgm
	.section	.rodata,"a",@progbits
	.p2align	6, 0x0
	.amdhsa_kernel fft_rtc_fwd_len2040_factors_17_4_3_10_wgs_170_tpt_170_halfLds_dp_ip_CI_unitstride_sbrr_R2C_dirReg
		.amdhsa_group_segment_fixed_size 0
		.amdhsa_private_segment_fixed_size 252
		.amdhsa_kernarg_size 88
		.amdhsa_user_sgpr_count 6
		.amdhsa_user_sgpr_private_segment_buffer 1
		.amdhsa_user_sgpr_dispatch_ptr 0
		.amdhsa_user_sgpr_queue_ptr 0
		.amdhsa_user_sgpr_kernarg_segment_ptr 1
		.amdhsa_user_sgpr_dispatch_id 0
		.amdhsa_user_sgpr_flat_scratch_init 0
		.amdhsa_user_sgpr_private_segment_size 0
		.amdhsa_wavefront_size32 1
		.amdhsa_uses_dynamic_stack 0
		.amdhsa_system_sgpr_private_segment_wavefront_offset 1
		.amdhsa_system_sgpr_workgroup_id_x 1
		.amdhsa_system_sgpr_workgroup_id_y 0
		.amdhsa_system_sgpr_workgroup_id_z 0
		.amdhsa_system_sgpr_workgroup_info 0
		.amdhsa_system_vgpr_workitem_id 0
		.amdhsa_next_free_vgpr 256
		.amdhsa_next_free_sgpr 60
		.amdhsa_reserve_vcc 1
		.amdhsa_reserve_flat_scratch 0
		.amdhsa_float_round_mode_32 0
		.amdhsa_float_round_mode_16_64 0
		.amdhsa_float_denorm_mode_32 3
		.amdhsa_float_denorm_mode_16_64 3
		.amdhsa_dx10_clamp 1
		.amdhsa_ieee_mode 1
		.amdhsa_fp16_overflow 0
		.amdhsa_workgroup_processor_mode 1
		.amdhsa_memory_ordered 1
		.amdhsa_forward_progress 0
		.amdhsa_shared_vgpr_count 0
		.amdhsa_exception_fp_ieee_invalid_op 0
		.amdhsa_exception_fp_denorm_src 0
		.amdhsa_exception_fp_ieee_div_zero 0
		.amdhsa_exception_fp_ieee_overflow 0
		.amdhsa_exception_fp_ieee_underflow 0
		.amdhsa_exception_fp_ieee_inexact 0
		.amdhsa_exception_int_div_zero 0
	.end_amdhsa_kernel
	.text
.Lfunc_end0:
	.size	fft_rtc_fwd_len2040_factors_17_4_3_10_wgs_170_tpt_170_halfLds_dp_ip_CI_unitstride_sbrr_R2C_dirReg, .Lfunc_end0-fft_rtc_fwd_len2040_factors_17_4_3_10_wgs_170_tpt_170_halfLds_dp_ip_CI_unitstride_sbrr_R2C_dirReg
                                        ; -- End function
	.section	.AMDGPU.csdata,"",@progbits
; Kernel info:
; codeLenInByte = 18172
; NumSgprs: 62
; NumVgprs: 256
; ScratchSize: 252
; MemoryBound: 0
; FloatMode: 240
; IeeeMode: 1
; LDSByteSize: 0 bytes/workgroup (compile time only)
; SGPRBlocks: 7
; VGPRBlocks: 31
; NumSGPRsForWavesPerEU: 62
; NumVGPRsForWavesPerEU: 256
; Occupancy: 4
; WaveLimiterHint : 1
; COMPUTE_PGM_RSRC2:SCRATCH_EN: 1
; COMPUTE_PGM_RSRC2:USER_SGPR: 6
; COMPUTE_PGM_RSRC2:TRAP_HANDLER: 0
; COMPUTE_PGM_RSRC2:TGID_X_EN: 1
; COMPUTE_PGM_RSRC2:TGID_Y_EN: 0
; COMPUTE_PGM_RSRC2:TGID_Z_EN: 0
; COMPUTE_PGM_RSRC2:TIDIG_COMP_CNT: 0
	.text
	.p2alignl 6, 3214868480
	.fill 48, 4, 3214868480
	.type	__hip_cuid_73b5f5947717d5ed,@object ; @__hip_cuid_73b5f5947717d5ed
	.section	.bss,"aw",@nobits
	.globl	__hip_cuid_73b5f5947717d5ed
__hip_cuid_73b5f5947717d5ed:
	.byte	0                               ; 0x0
	.size	__hip_cuid_73b5f5947717d5ed, 1

	.ident	"AMD clang version 19.0.0git (https://github.com/RadeonOpenCompute/llvm-project roc-6.4.0 25133 c7fe45cf4b819c5991fe208aaa96edf142730f1d)"
	.section	".note.GNU-stack","",@progbits
	.addrsig
	.addrsig_sym __hip_cuid_73b5f5947717d5ed
	.amdgpu_metadata
---
amdhsa.kernels:
  - .args:
      - .actual_access:  read_only
        .address_space:  global
        .offset:         0
        .size:           8
        .value_kind:     global_buffer
      - .offset:         8
        .size:           8
        .value_kind:     by_value
      - .actual_access:  read_only
        .address_space:  global
        .offset:         16
        .size:           8
        .value_kind:     global_buffer
      - .actual_access:  read_only
        .address_space:  global
        .offset:         24
        .size:           8
        .value_kind:     global_buffer
      - .offset:         32
        .size:           8
        .value_kind:     by_value
      - .actual_access:  read_only
        .address_space:  global
        .offset:         40
        .size:           8
        .value_kind:     global_buffer
      - .actual_access:  read_only
        .address_space:  global
        .offset:         48
        .size:           8
        .value_kind:     global_buffer
      - .offset:         56
        .size:           4
        .value_kind:     by_value
      - .actual_access:  read_only
        .address_space:  global
        .offset:         64
        .size:           8
        .value_kind:     global_buffer
      - .actual_access:  read_only
        .address_space:  global
        .offset:         72
        .size:           8
        .value_kind:     global_buffer
      - .address_space:  global
        .offset:         80
        .size:           8
        .value_kind:     global_buffer
    .group_segment_fixed_size: 0
    .kernarg_segment_align: 8
    .kernarg_segment_size: 88
    .language:       OpenCL C
    .language_version:
      - 2
      - 0
    .max_flat_workgroup_size: 170
    .name:           fft_rtc_fwd_len2040_factors_17_4_3_10_wgs_170_tpt_170_halfLds_dp_ip_CI_unitstride_sbrr_R2C_dirReg
    .private_segment_fixed_size: 252
    .sgpr_count:     62
    .sgpr_spill_count: 0
    .symbol:         fft_rtc_fwd_len2040_factors_17_4_3_10_wgs_170_tpt_170_halfLds_dp_ip_CI_unitstride_sbrr_R2C_dirReg.kd
    .uniform_work_group_size: 1
    .uses_dynamic_stack: false
    .vgpr_count:     256
    .vgpr_spill_count: 62
    .wavefront_size: 32
    .workgroup_processor_mode: 1
amdhsa.target:   amdgcn-amd-amdhsa--gfx1030
amdhsa.version:
  - 1
  - 2
...

	.end_amdgpu_metadata
